;; amdgpu-corpus repo=ROCm/rocFFT kind=compiled arch=gfx1030 opt=O3
	.text
	.amdgcn_target "amdgcn-amd-amdhsa--gfx1030"
	.amdhsa_code_object_version 6
	.protected	bluestein_single_back_len765_dim1_sp_op_CI_CI ; -- Begin function bluestein_single_back_len765_dim1_sp_op_CI_CI
	.globl	bluestein_single_back_len765_dim1_sp_op_CI_CI
	.p2align	8
	.type	bluestein_single_back_len765_dim1_sp_op_CI_CI,@function
bluestein_single_back_len765_dim1_sp_op_CI_CI: ; @bluestein_single_back_len765_dim1_sp_op_CI_CI
; %bb.0:
	s_load_dwordx4 s[0:3], s[4:5], 0x28
	v_mul_u32_u24_e32 v1, 0x506, v0
	v_lshrrev_b32_e32 v1, 16, v1
	v_mad_u64_u32 v[88:89], null, s6, 5, v[1:2]
	v_mov_b32_e32 v89, 0
                                        ; kill: def $vgpr2 killed $sgpr0 killed $exec
	s_waitcnt lgkmcnt(0)
	v_cmp_gt_u64_e32 vcc_lo, s[0:1], v[88:89]
	s_and_saveexec_b32 s0, vcc_lo
	s_cbranch_execz .LBB0_15
; %bb.1:
	v_mul_hi_u32 v2, 0xcccccccd, v88
	s_clause 0x1
	s_load_dwordx2 s[12:13], s[4:5], 0x0
	s_load_dwordx2 s[14:15], s[4:5], 0x38
	v_mul_lo_u16 v1, v1, 51
	v_sub_nc_u16 v0, v0, v1
	v_lshrrev_b32_e32 v2, 2, v2
	v_and_b32_e32 v95, 0xffff, v0
	v_lshl_add_u32 v2, v2, 2, v2
	v_cmp_gt_u16_e32 vcc_lo, 45, v0
	v_lshlrev_b32_e32 v93, 3, v95
	v_sub_nc_u32_e32 v1, v88, v2
	v_mul_u32_u24_e32 v94, 0x2fd, v1
	v_lshlrev_b32_e32 v96, 3, v94
	s_and_saveexec_b32 s1, vcc_lo
	s_cbranch_execz .LBB0_3
; %bb.2:
	s_load_dwordx2 s[6:7], s[4:5], 0x18
	s_waitcnt lgkmcnt(0)
	v_add_co_u32 v20, s0, s12, v93
	v_add_co_ci_u32_e64 v21, null, s13, 0, s0
	s_load_dwordx4 s[8:11], s[6:7], 0x0
	s_clause 0x3
	global_load_dwordx2 v[4:5], v93, s[12:13]
	global_load_dwordx2 v[6:7], v93, s[12:13] offset:360
	global_load_dwordx2 v[8:9], v93, s[12:13] offset:720
	global_load_dwordx2 v[10:11], v93, s[12:13] offset:1080
	s_waitcnt lgkmcnt(0)
	v_mad_u64_u32 v[0:1], null, s10, v88, 0
	v_mad_u64_u32 v[2:3], null, s8, v95, 0
	s_mul_i32 s6, s9, 0x168
	s_mul_hi_u32 s7, s8, 0x168
	s_add_i32 s7, s7, s6
	v_mad_u64_u32 v[12:13], null, s11, v88, v[1:2]
	s_clause 0x1
	global_load_dwordx2 v[13:14], v93, s[12:13] offset:1440
	global_load_dwordx2 v[15:16], v93, s[12:13] offset:1800
	v_mov_b32_e32 v1, v12
	v_add_nc_u32_e32 v12, v96, v93
	v_lshlrev_b64 v[0:1], 3, v[0:1]
	v_add_nc_u32_e32 v72, 0x400, v12
	v_add_nc_u32_e32 v73, 0x800, v12
	v_add_nc_u32_e32 v74, 0xc00, v12
	v_add_nc_u32_e32 v75, 0x1000, v12
	s_waitcnt vmcnt(5)
	v_mad_u64_u32 v[17:18], null, s9, v95, v[3:4]
	v_add_co_u32 v18, s0, 0x800, v20
	v_add_co_ci_u32_e64 v19, s0, 0, v21, s0
	v_add_co_u32 v20, s0, 0x1000, v20
	v_mov_b32_e32 v3, v17
	v_add_co_ci_u32_e64 v21, s0, 0, v21, s0
	v_add_co_u32 v0, s0, s2, v0
	v_lshlrev_b64 v[2:3], 3, v[2:3]
	v_add_co_ci_u32_e64 v1, s0, s3, v1, s0
	s_mul_i32 s2, s8, 0x168
	s_clause 0x5
	global_load_dwordx2 v[22:23], v[18:19], off offset:112
	global_load_dwordx2 v[24:25], v[18:19], off offset:472
	;; [unrolled: 1-line block ×6, first 2 shown]
	v_add_co_u32 v0, s0, v0, v2
	v_add_co_ci_u32_e64 v1, s0, v1, v3, s0
	s_clause 0x2
	global_load_dwordx2 v[34:35], v[20:21], off offset:224
	global_load_dwordx2 v[36:37], v[20:21], off offset:584
	;; [unrolled: 1-line block ×3, first 2 shown]
	v_add_co_u32 v2, s0, v0, s2
	v_add_co_ci_u32_e64 v3, s0, s7, v1, s0
	global_load_dwordx2 v[0:1], v[0:1], off
	v_add_co_u32 v32, s0, v2, s2
	v_add_co_ci_u32_e64 v33, s0, s7, v3, s0
	v_add_co_u32 v40, s0, v32, s2
	v_add_co_ci_u32_e64 v41, s0, s7, v33, s0
	;; [unrolled: 2-line block ×3, first 2 shown]
	s_clause 0x2
	global_load_dwordx2 v[2:3], v[2:3], off
	global_load_dwordx2 v[32:33], v[32:33], off
	;; [unrolled: 1-line block ×3, first 2 shown]
	v_add_co_u32 v44, s0, v42, s2
	v_add_co_ci_u32_e64 v45, s0, s7, v43, s0
	global_load_dwordx2 v[42:43], v[42:43], off
	v_add_co_u32 v46, s0, v44, s2
	v_add_co_ci_u32_e64 v47, s0, s7, v45, s0
	global_load_dwordx2 v[44:45], v[44:45], off
	;; [unrolled: 3-line block ×11, first 2 shown]
	v_add_co_u32 v66, s0, v64, s2
	v_add_co_ci_u32_e64 v67, s0, s7, v65, s0
	global_load_dwordx2 v[68:69], v[20:21], off offset:1304
	global_load_dwordx2 v[64:65], v[64:65], off
	global_load_dwordx2 v[19:20], v[20:21], off offset:1664
	global_load_dwordx2 v[66:67], v[66:67], off
	v_lshl_add_u32 v21, v95, 3, v96
	s_waitcnt vmcnt(18)
	v_mul_f32_e32 v70, v1, v5
	v_mul_f32_e32 v5, v0, v5
	v_fmac_f32_e32 v70, v0, v4
	v_fma_f32 v71, v1, v4, -v5
	ds_write_b64 v21, v[70:71]
	s_waitcnt vmcnt(17)
	v_mul_f32_e32 v0, v3, v7
	v_mul_f32_e32 v1, v2, v7
	s_waitcnt vmcnt(15)
	v_mul_f32_e32 v4, v41, v11
	v_mul_f32_e32 v5, v40, v11
	v_fmac_f32_e32 v0, v2, v6
	v_mul_f32_e32 v2, v33, v9
	v_fma_f32 v1, v3, v6, -v1
	v_mul_f32_e32 v3, v32, v9
	v_fmac_f32_e32 v4, v40, v10
	v_fma_f32 v5, v41, v10, -v5
	v_fmac_f32_e32 v2, v32, v8
	s_waitcnt vmcnt(13)
	v_mul_f32_e32 v9, v44, v16
	v_fma_f32 v3, v33, v8, -v3
	v_mul_f32_e32 v8, v45, v16
	v_mul_f32_e32 v6, v43, v14
	;; [unrolled: 1-line block ×3, first 2 shown]
	s_waitcnt vmcnt(12)
	v_mul_f32_e32 v10, v47, v23
	v_mul_f32_e32 v11, v46, v23
	v_fmac_f32_e32 v8, v44, v15
	v_fma_f32 v9, v45, v15, -v9
	v_fmac_f32_e32 v6, v42, v13
	v_fmac_f32_e32 v10, v46, v22
	v_fma_f32 v11, v47, v22, -v11
	v_fma_f32 v7, v43, v13, -v7
	ds_write2_b64 v12, v[0:1], v[2:3] offset0:45 offset1:90
	ds_write2_b64 v12, v[4:5], v[6:7] offset0:135 offset1:180
	;; [unrolled: 1-line block ×3, first 2 shown]
	s_waitcnt vmcnt(11)
	v_mul_f32_e32 v0, v49, v25
	v_mul_f32_e32 v1, v48, v25
	s_waitcnt vmcnt(10)
	v_mul_f32_e32 v2, v51, v27
	v_mul_f32_e32 v3, v50, v27
	;; [unrolled: 3-line block ×3, first 2 shown]
	v_fmac_f32_e32 v0, v48, v24
	s_waitcnt vmcnt(8)
	v_mul_f32_e32 v6, v55, v31
	v_mul_f32_e32 v7, v54, v31
	v_fma_f32 v1, v49, v24, -v1
	v_fmac_f32_e32 v2, v50, v26
	v_fma_f32 v3, v51, v26, -v3
	s_waitcnt vmcnt(7)
	v_mul_f32_e32 v8, v57, v18
	v_mul_f32_e32 v9, v56, v18
	v_fmac_f32_e32 v4, v52, v28
	v_fma_f32 v5, v53, v28, -v5
	v_fmac_f32_e32 v6, v54, v30
	s_waitcnt vmcnt(6)
	v_mul_f32_e32 v10, v59, v35
	v_mul_f32_e32 v11, v58, v35
	v_fmac_f32_e32 v8, v56, v17
	v_fma_f32 v9, v57, v17, -v9
	v_fma_f32 v7, v55, v30, -v7
	s_waitcnt vmcnt(5)
	v_mul_f32_e32 v12, v61, v37
	v_mul_f32_e32 v13, v60, v37
	v_fmac_f32_e32 v10, v58, v34
	v_fma_f32 v11, v59, v34, -v11
	s_waitcnt vmcnt(4)
	v_mul_f32_e32 v14, v63, v39
	v_mul_f32_e32 v15, v62, v39
	v_fmac_f32_e32 v12, v60, v36
	s_waitcnt vmcnt(2)
	v_mul_f32_e32 v16, v65, v69
	v_mul_f32_e32 v17, v64, v69
	s_waitcnt vmcnt(0)
	v_mul_f32_e32 v18, v67, v20
	v_mul_f32_e32 v20, v66, v20
	v_fma_f32 v13, v61, v36, -v13
	v_fmac_f32_e32 v14, v62, v38
	v_fma_f32 v15, v63, v38, -v15
	v_fmac_f32_e32 v16, v64, v68
	;; [unrolled: 2-line block ×3, first 2 shown]
	v_fma_f32 v19, v67, v19, -v20
	ds_write2_b64 v73, v[0:1], v[2:3] offset0:59 offset1:104
	ds_write2_b64 v73, v[4:5], v[6:7] offset0:149 offset1:194
	;; [unrolled: 1-line block ×5, first 2 shown]
.LBB0_3:
	s_or_b32 exec_lo, exec_lo, s1
	s_clause 0x1
	s_load_dwordx2 s[0:1], s[4:5], 0x20
	s_load_dwordx2 s[2:3], s[4:5], 0x8
	v_mov_b32_e32 v0, 0
	v_mov_b32_e32 v1, 0
	s_waitcnt lgkmcnt(0)
	s_barrier
	buffer_gl0_inv
                                        ; implicit-def: $vgpr18
                                        ; implicit-def: $vgpr12
                                        ; implicit-def: $vgpr8
                                        ; implicit-def: $vgpr4
                                        ; implicit-def: $vgpr32
                                        ; implicit-def: $vgpr22
                                        ; implicit-def: $vgpr30
                                        ; implicit-def: $vgpr26
                                        ; kill: def $vgpr2 killed $sgpr0 killed $exec
	s_and_saveexec_b32 s4, vcc_lo
	s_cbranch_execz .LBB0_5
; %bb.4:
	v_lshl_add_u32 v32, v94, 3, v93
	ds_read2_b64 v[0:3], v32 offset1:45
	ds_read2_b64 v[24:27], v32 offset0:90 offset1:135
	v_add_nc_u32_e32 v4, 0x800, v32
	v_add_nc_u32_e32 v5, 0x1000, v32
	ds_read2_b64 v[28:31], v32 offset0:180 offset1:225
	ds_read2_b64 v[20:23], v4 offset0:14 offset1:59
	;; [unrolled: 1-line block ×6, first 2 shown]
	ds_read_b64 v[32:33], v32 offset:5760
.LBB0_5:
	s_or_b32 exec_lo, exec_lo, s4
	s_waitcnt lgkmcnt(0)
	v_sub_f32_e32 v74, v3, v33
	v_sub_f32_e32 v86, v2, v32
	v_add_f32_e32 v34, v32, v2
	v_sub_f32_e32 v80, v25, v7
	v_add_f32_e32 v36, v33, v3
	v_mul_f32_e32 v50, 0xbeb8f4ab, v74
	v_mul_f32_e32 v52, 0xbeb8f4ab, v86
	v_add_f32_e32 v35, v6, v24
	v_sub_f32_e32 v82, v24, v6
	v_mul_f32_e32 v51, 0xbf2c7751, v80
	v_fmamk_f32 v37, v34, 0x3f6eb680, v50
	v_fma_f32 v38, 0x3f6eb680, v36, -v52
	v_mul_f32_e32 v63, 0xbf2c7751, v74
	v_mul_f32_e32 v64, 0xbf2c7751, v86
	v_fmamk_f32 v42, v35, 0x3f3d2fb0, v51
	v_add_f32_e32 v39, v37, v0
	v_add_f32_e32 v37, v7, v25
	v_mul_f32_e32 v54, 0xbf2c7751, v82
	v_add_f32_e32 v40, v38, v1
	v_fmamk_f32 v38, v34, 0x3f3d2fb0, v63
	v_fma_f32 v41, 0x3f3d2fb0, v36, -v64
	v_add_f32_e32 v42, v42, v39
	v_sub_f32_e32 v98, v27, v5
	v_fma_f32 v39, 0x3f3d2fb0, v37, -v54
	v_mul_f32_e32 v67, 0xbf7ee86f, v80
	v_mul_f32_e32 v69, 0xbf7ee86f, v82
	v_sub_f32_e32 v107, v26, v4
	v_add_f32_e32 v43, v38, v0
	v_add_f32_e32 v41, v41, v1
	;; [unrolled: 1-line block ×3, first 2 shown]
	v_mul_f32_e32 v53, 0xbf65296c, v98
	v_add_f32_e32 v44, v39, v40
	v_fmamk_f32 v40, v35, 0x3dbcf732, v67
	v_fma_f32 v45, 0x3dbcf732, v37, -v69
	v_add_f32_e32 v39, v5, v27
	v_mul_f32_e32 v55, 0xbf65296c, v107
	v_sub_f32_e32 v109, v29, v11
	v_fmamk_f32 v46, v38, 0x3ee437d1, v53
	v_add_f32_e32 v43, v40, v43
	v_add_f32_e32 v45, v45, v41
	v_fma_f32 v41, 0x3ee437d1, v39, -v55
	v_mul_f32_e32 v71, 0xbf4c4adb, v98
	v_mul_f32_e32 v72, 0xbf4c4adb, v107
	v_add_f32_e32 v40, v10, v28
	v_mul_f32_e32 v56, 0xbf7ee86f, v109
	v_sub_f32_e32 v112, v28, v10
	v_add_f32_e32 v42, v46, v42
	v_add_f32_e32 v44, v41, v44
	v_fmamk_f32 v46, v38, 0xbf1a4643, v71
	v_fma_f32 v47, 0xbf1a4643, v39, -v72
	v_fmamk_f32 v48, v40, 0x3dbcf732, v56
	v_add_f32_e32 v41, v11, v29
	v_mul_f32_e32 v58, 0xbf7ee86f, v112
	v_sub_f32_e32 v113, v31, v9
	v_mul_f32_e32 v75, 0xbe3c28d5, v109
	v_mul_f32_e32 v77, 0xbe3c28d5, v112
	v_sub_f32_e32 v114, v30, v8
	v_add_f32_e32 v46, v46, v43
	v_add_f32_e32 v45, v47, v45
	;; [unrolled: 1-line block ×3, first 2 shown]
	v_fma_f32 v48, 0x3dbcf732, v41, -v58
	v_add_f32_e32 v42, v8, v30
	v_mul_f32_e32 v57, 0xbf763a35, v113
	v_fmamk_f32 v49, v40, 0xbf7ba420, v75
	v_fma_f32 v59, 0xbf7ba420, v41, -v77
	v_add_f32_e32 v43, v9, v31
	v_mul_f32_e32 v61, 0xbf763a35, v114
	v_sub_f32_e32 v115, v21, v15
	v_sub_f32_e32 v116, v20, v14
	v_fmamk_f32 v60, v42, 0xbe8c1d8e, v57
	v_add_f32_e32 v48, v48, v44
	v_add_f32_e32 v46, v49, v46
	;; [unrolled: 1-line block ×3, first 2 shown]
	v_fma_f32 v59, 0xbe8c1d8e, v43, -v61
	v_mul_f32_e32 v85, 0x3f06c442, v113
	v_mul_f32_e32 v87, 0x3f06c442, v114
	v_add_f32_e32 v44, v14, v20
	v_mul_f32_e32 v62, 0xbf4c4adb, v115
	v_add_f32_e32 v45, v15, v21
	;; [unrolled: 2-line block ×3, first 2 shown]
	v_fmamk_f32 v60, v42, 0xbf59a7d5, v85
	v_fma_f32 v65, 0xbf59a7d5, v43, -v87
	v_fmamk_f32 v68, v44, 0xbf1a4643, v62
	v_add_f32_e32 v48, v59, v48
	v_fma_f32 v59, 0xbf1a4643, v45, -v66
	v_mul_f32_e32 v97, 0x3f763a35, v115
	v_sub_f32_e32 v117, v23, v13
	v_sub_f32_e32 v118, v22, v12
	v_add_f32_e32 v60, v60, v46
	v_add_f32_e32 v49, v65, v49
	;; [unrolled: 1-line block ×4, first 2 shown]
	v_mul_f32_e32 v106, 0x3f763a35, v116
	v_fmamk_f32 v70, v44, 0xbe8c1d8e, v97
	v_add_f32_e32 v46, v12, v22
	v_mul_f32_e32 v59, 0xbf06c442, v117
	v_add_f32_e32 v47, v13, v23
	v_mul_f32_e32 v68, 0xbf06c442, v118
	v_mul_f32_e32 v99, 0x3f65296c, v117
	v_fma_f32 v73, 0xbe8c1d8e, v45, -v106
	v_fmamk_f32 v76, v46, 0xbf59a7d5, v59
	v_add_f32_e32 v60, v70, v60
	v_fma_f32 v70, 0xbf59a7d5, v47, -v68
	v_fmamk_f32 v78, v46, 0x3ee437d1, v99
	v_mul_f32_e32 v110, 0x3f65296c, v118
	v_sub_f32_e32 v119, v17, v19
	v_sub_f32_e32 v120, v16, v18
	v_add_f32_e32 v73, v73, v49
	v_add_f32_e32 v76, v76, v65
	;; [unrolled: 1-line block ×4, first 2 shown]
	v_fma_f32 v79, 0x3ee437d1, v47, -v110
	v_add_f32_e32 v48, v18, v16
	v_add_f32_e32 v49, v19, v17
	v_mul_f32_e32 v60, 0xbe3c28d5, v119
	v_mul_f32_e32 v65, 0xbe3c28d5, v120
	;; [unrolled: 1-line block ×4, first 2 shown]
	v_add_f32_e32 v73, v79, v73
	v_fmamk_f32 v79, v48, 0xbf7ba420, v60
	v_fma_f32 v83, 0xbf7ba420, v49, -v65
	v_fmamk_f32 v84, v48, 0x3f6eb680, v81
	v_fma_f32 v92, 0x3f6eb680, v49, -v111
	v_add_f32_e32 v89, v79, v76
	v_add_f32_e32 v90, v83, v70
	v_add_f32_e32 v91, v84, v78
	v_add_f32_e32 v92, v92, v73
	s_barrier
	buffer_gl0_inv
	s_and_saveexec_b32 s4, vcc_lo
	s_cbranch_execz .LBB0_7
; %bb.6:
	v_mul_f32_e32 v101, 0xbe3c28d5, v86
	v_mul_f32_e32 v84, 0x3eb8f4ab, v82
	;; [unrolled: 1-line block ×5, first 2 shown]
	v_fmamk_f32 v100, v36, 0xbf7ba420, v101
	v_fmamk_f32 v102, v37, 0x3f6eb680, v84
	;; [unrolled: 1-line block ×3, first 2 shown]
	v_mul_f32_e32 v78, 0xbf4c4adb, v114
	v_mul_f32_e32 v105, 0x3eb8f4ab, v80
	v_add_f32_e32 v100, v100, v1
	v_fma_f32 v122, 0xbf7ba420, v34, -v108
	v_fmamk_f32 v123, v41, 0x3f3d2fb0, v79
	v_mul_f32_e32 v76, 0x3f65296c, v116
	v_mul_f32_e32 v103, 0xbf06c442, v98
	v_add_f32_e32 v100, v102, v100
	v_fma_f32 v124, 0x3f6eb680, v35, -v105
	v_add_f32_e32 v122, v122, v0
	v_fmamk_f32 v125, v43, 0xbf1a4643, v78
	v_add_f32_e32 v2, v2, v0
	v_add_f32_e32 v121, v121, v100
	v_mul_f32_e32 v73, 0xbf763a35, v118
	v_mul_f32_e32 v102, 0x3f2c7751, v109
	v_add_f32_e32 v122, v124, v122
	v_add_f32_e32 v3, v3, v1
	;; [unrolled: 1-line block ×3, first 2 shown]
	v_fma_f32 v123, 0xbf59a7d5, v38, -v103
	v_fmamk_f32 v124, v45, 0x3ee437d1, v76
	v_add_f32_e32 v2, v24, v2
	v_mul_f32_e32 v104, 0xbf4c4adb, v113
	v_add_f32_e32 v121, v125, v121
	v_fma_f32 v125, 0x3f3d2fb0, v40, -v102
	v_add_f32_e32 v122, v123, v122
	v_fmamk_f32 v123, v47, 0xbe8c1d8e, v73
	v_add_f32_e32 v3, v25, v3
	v_add_f32_e32 v121, v124, v121
	v_add_f32_e32 v2, v26, v2
	v_fma_f32 v124, 0xbf1a4643, v42, -v104
	v_add_f32_e32 v122, v125, v122
	v_add_f32_e32 v3, v27, v3
	;; [unrolled: 1-line block ×3, first 2 shown]
	v_mul_f32_e32 v121, 0xbf06c442, v86
	v_add_f32_e32 v2, v28, v2
	v_mul_f32_e32 v100, 0x3f65296c, v115
	v_add_f32_e32 v123, v124, v122
	v_mul_f32_e32 v122, 0x3f65296c, v82
	v_fmamk_f32 v27, v36, 0xbf59a7d5, v121
	v_add_f32_e32 v3, v29, v3
	v_add_f32_e32 v2, v30, v2
	v_mul_f32_e32 v70, 0x3f7ee86f, v120
	v_fma_f32 v26, 0x3ee437d1, v44, -v100
	v_add_f32_e32 v28, v27, v1
	v_fmamk_f32 v29, v37, 0x3ee437d1, v122
	v_add_f32_e32 v31, v31, v3
	v_mul_f32_e32 v27, 0xbf7ee86f, v107
	v_add_f32_e32 v2, v20, v2
	v_mul_f32_e32 v25, 0xbf763a35, v117
	v_fmamk_f32 v3, v49, 0x3dbcf732, v70
	v_add_f32_e32 v123, v26, v123
	v_add_f32_e32 v28, v29, v28
	v_fmamk_f32 v29, v39, 0x3dbcf732, v27
	v_mul_f32_e32 v26, 0x3f4c4adb, v112
	v_add_f32_e32 v31, v21, v31
	v_add_f32_e32 v2, v22, v2
	v_fma_f32 v124, 0xbe8c1d8e, v46, -v25
	v_add_f32_e32 v3, v3, v24
	v_add_f32_e32 v28, v29, v28
	v_fmamk_f32 v29, v41, 0xbf1a4643, v26
	v_mul_f32_e32 v24, 0xbeb8f4ab, v114
	v_add_f32_e32 v23, v23, v31
	v_add_f32_e32 v2, v16, v2
	;; [unrolled: 1-line block ×4, first 2 shown]
	v_fmamk_f32 v28, v43, 0x3f6eb680, v24
	v_mul_f32_e32 v123, 0xbf06c442, v74
	v_add_f32_e32 v17, v17, v23
	v_add_f32_e32 v18, v18, v2
	v_mul_f32_e32 v126, 0x3f65296c, v80
	v_add_f32_e32 v28, v28, v20
	v_mul_f32_e32 v20, 0xbe3c28d5, v116
	v_fma_f32 v22, 0xbf59a7d5, v34, -v123
	v_add_f32_e32 v17, v19, v17
	v_add_f32_e32 v12, v12, v18
	v_mul_f32_e32 v21, 0x3f7ee86f, v119
	v_fmamk_f32 v23, v45, 0xbf7ba420, v20
	v_mul_f32_e32 v16, 0x3f2c7751, v118
	v_add_f32_e32 v31, v22, v0
	v_fma_f32 v124, 0x3ee437d1, v35, -v126
	v_mul_f32_e32 v22, 0xbf7ee86f, v98
	v_add_f32_e32 v13, v13, v17
	v_add_f32_e32 v12, v14, v12
	v_fma_f32 v29, 0x3dbcf732, v48, -v21
	v_add_f32_e32 v23, v23, v28
	v_fmamk_f32 v28, v47, 0x3f3d2fb0, v16
	v_add_f32_e32 v31, v124, v31
	v_fma_f32 v124, 0x3dbcf732, v38, -v22
	v_mul_f32_e32 v19, 0x3f4c4adb, v109
	v_mul_f32_e32 v128, 0xbf4c4adb, v86
	v_add_f32_e32 v13, v15, v13
	v_add_f32_e32 v8, v8, v12
	;; [unrolled: 1-line block ×5, first 2 shown]
	v_fma_f32 v29, 0xbf1a4643, v40, -v19
	v_mul_f32_e32 v31, 0xbeb8f4ab, v113
	v_fmamk_f32 v14, v36, 0xbf1a4643, v128
	v_mul_f32_e32 v129, 0x3f763a35, v82
	v_add_f32_e32 v9, v9, v13
	v_add_f32_e32 v8, v10, v8
	;; [unrolled: 1-line block ×3, first 2 shown]
	v_fma_f32 v12, 0x3f6eb680, v42, -v31
	v_add_f32_e32 v13, v14, v1
	v_fmamk_f32 v14, v37, 0xbe8c1d8e, v129
	v_add_f32_e32 v9, v11, v9
	v_mul_f32_e32 v130, 0xbeb8f4ab, v107
	v_mul_f32_e32 v28, 0xbe3c28d5, v115
	v_add_f32_e32 v4, v4, v8
	v_mul_f32_e32 v133, 0xbf4c4adb, v74
	v_add_f32_e32 v11, v12, v17
	v_add_f32_e32 v12, v14, v13
	v_fmamk_f32 v13, v39, 0x3f6eb680, v130
	v_fma_f32 v14, 0xbf7ba420, v44, -v28
	v_add_f32_e32 v5, v5, v9
	v_mul_f32_e32 v132, 0xbf06c442, v112
	v_add_f32_e32 v6, v6, v4
	v_fma_f32 v4, 0xbf1a4643, v34, -v133
	v_mul_f32_e32 v134, 0x3f763a35, v80
	v_add_f32_e32 v8, v13, v12
	v_add_f32_e32 v7, v7, v5
	v_fmamk_f32 v5, v41, 0xbf59a7d5, v132
	v_mul_f32_e32 v142, 0x3f7ee86f, v114
	v_add_f32_e32 v9, v14, v11
	v_add_f32_e32 v4, v4, v0
	v_fma_f32 v11, 0xbe8c1d8e, v35, -v134
	v_mul_f32_e32 v18, 0xbf763a35, v120
	v_add_f32_e32 v5, v5, v8
	v_mul_f32_e32 v148, 0xbf2c7751, v116
	v_mul_f32_e32 v125, 0xbeb8f4ab, v98
	v_add_f32_e32 v4, v11, v4
	v_fmamk_f32 v11, v43, 0x3dbcf732, v142
	v_fmamk_f32 v10, v49, 0xbe8c1d8e, v18
	v_fmamk_f32 v13, v45, 0x3f3d2fb0, v148
	v_mul_f32_e32 v150, 0xbf763a35, v74
	v_mul_f32_e32 v131, 0x3f2c7751, v117
	v_add_f32_e32 v11, v11, v5
	v_fma_f32 v8, 0x3f6eb680, v38, -v125
	v_mul_f32_e32 v127, 0xbf06c442, v109
	v_add_f32_e32 v5, v10, v23
	v_mul_f32_e32 v151, 0x3f06c442, v80
	v_add_f32_e32 v10, v13, v11
	v_fma_f32 v13, 0xbe8c1d8e, v34, -v150
	v_fma_f32 v12, 0x3f3d2fb0, v46, -v131
	v_mul_f32_e32 v124, 0xbf763a35, v119
	v_add_f32_e32 v4, v8, v4
	v_fma_f32 v8, 0xbf59a7d5, v40, -v127
	v_mul_f32_e32 v29, 0x3f7ee86f, v113
	v_add_f32_e32 v13, v13, v0
	v_fma_f32 v15, 0xbf59a7d5, v35, -v151
	v_mul_f32_e32 v152, 0x3f2c7751, v98
	v_add_f32_e32 v9, v12, v9
	v_fma_f32 v12, 0xbe8c1d8e, v48, -v124
	v_add_f32_e32 v8, v8, v4
	v_fma_f32 v14, 0x3dbcf732, v42, -v29
	v_mul_f32_e32 v30, 0xbf2c7751, v115
	v_mul_f32_e32 v154, 0xbe3c28d5, v118
	v_add_f32_e32 v13, v15, v13
	v_fma_f32 v15, 0x3f3d2fb0, v38, -v152
	v_mul_f32_e32 v141, 0xbf65296c, v109
	v_add_f32_e32 v4, v12, v9
	v_add_f32_e32 v8, v14, v8
	v_fma_f32 v9, 0x3f3d2fb0, v44, -v30
	v_mul_f32_e32 v23, 0xbe3c28d5, v117
	v_fmamk_f32 v11, v47, 0xbf7ba420, v154
	v_mul_f32_e32 v155, 0xbf763a35, v86
	v_add_f32_e32 v13, v15, v13
	v_fma_f32 v15, 0x3ee437d1, v40, -v141
	v_mul_f32_e32 v143, 0xbe3c28d5, v113
	v_add_f32_e32 v8, v9, v8
	v_fma_f32 v9, 0xbf7ba420, v46, -v23
	v_add_f32_e32 v10, v11, v10
	v_mul_f32_e32 v146, 0x3f65296c, v120
	v_fmamk_f32 v11, v36, 0xbe8c1d8e, v155
	v_mul_f32_e32 v163, 0x3f06c442, v82
	v_add_f32_e32 v13, v15, v13
	v_fma_f32 v15, 0xbf7ba420, v42, -v143
	v_mul_f32_e32 v144, 0x3f7ee86f, v115
	v_add_f32_e32 v8, v9, v8
	v_fmamk_f32 v9, v49, 0x3ee437d1, v146
	v_add_f32_e32 v11, v11, v1
	v_fmamk_f32 v14, v37, 0xbf59a7d5, v163
	v_mul_f32_e32 v156, 0x3f2c7751, v107
	v_add_f32_e32 v13, v15, v13
	v_fma_f32 v15, 0x3dbcf732, v44, -v144
	v_mul_f32_e32 v160, 0xbf7ee86f, v74
	v_add_f32_e32 v11, v14, v11
	v_fmamk_f32 v14, v39, 0x3f3d2fb0, v156
	v_mul_f32_e32 v157, 0xbf65296c, v112
	v_add_f32_e32 v9, v9, v10
	v_add_f32_e32 v10, v15, v13
	v_fma_f32 v15, 0x3dbcf732, v34, -v160
	v_mul_f32_e32 v161, 0xbe3c28d5, v80
	v_add_f32_e32 v7, v33, v7
	v_add_f32_e32 v11, v14, v11
	v_fmamk_f32 v14, v41, 0x3ee437d1, v157
	v_mul_f32_e32 v158, 0xbe3c28d5, v114
	v_add_f32_e32 v15, v15, v0
	v_fma_f32 v33, 0xbf7ba420, v35, -v161
	v_mul_f32_e32 v149, 0x3f763a35, v98
	v_add_f32_e32 v11, v14, v11
	v_fmamk_f32 v14, v43, 0xbf7ba420, v158
	v_mul_f32_e32 v159, 0x3f7ee86f, v116
	v_add_f32_e32 v15, v33, v15
	v_fma_f32 v33, 0xbe8c1d8e, v38, -v149
	v_mul_f32_e32 v139, 0x3eb8f4ab, v109
	v_mul_f32_e32 v17, 0x3f65296c, v119
	v_add_f32_e32 v11, v14, v11
	v_fmamk_f32 v14, v45, 0x3dbcf732, v159
	v_mul_f32_e32 v153, 0xbeb8f4ab, v118
	v_add_f32_e32 v15, v33, v15
	v_fma_f32 v33, 0x3f6eb680, v40, -v139
	v_mul_f32_e32 v137, 0xbf65296c, v113
	v_fma_f32 v12, 0x3ee437d1, v48, -v17
	v_mul_f32_e32 v136, 0xbeb8f4ab, v117
	v_add_f32_e32 v11, v14, v11
	v_fmamk_f32 v14, v47, 0x3f6eb680, v153
	v_mul_f32_e32 v145, 0xbf4c4adb, v120
	v_add_f32_e32 v15, v33, v15
	v_fma_f32 v33, 0x3ee437d1, v42, -v137
	v_mul_f32_e32 v135, 0xbf06c442, v115
	v_fma_f32 v13, 0x3f6eb680, v46, -v136
	v_add_f32_e32 v8, v12, v8
	v_add_f32_e32 v11, v14, v11
	v_mul_f32_e32 v162, 0xbf7ee86f, v86
	v_fmamk_f32 v12, v49, 0xbf1a4643, v145
	v_add_f32_e32 v15, v33, v15
	v_fma_f32 v140, 0xbf59a7d5, v44, -v135
	v_mul_f32_e32 v33, 0x3f4c4adb, v117
	v_add_f32_e32 v10, v13, v10
	v_fmamk_f32 v13, v36, 0x3dbcf732, v162
	v_mul_f32_e32 v170, 0xbe3c28d5, v82
	v_add_f32_e32 v11, v12, v11
	v_add_f32_e32 v12, v140, v15
	v_fma_f32 v15, 0xbf1a4643, v46, -v33
	v_mul_f32_e32 v169, 0xbf65296c, v86
	v_mul_f32_e32 v167, 0xbf65296c, v74
	v_add_f32_e32 v6, v32, v6
	v_add_f32_e32 v13, v13, v1
	v_fmamk_f32 v32, v37, 0xbf7ba420, v170
	v_mul_f32_e32 v171, 0x3f763a35, v107
	v_add_f32_e32 v12, v15, v12
	v_fmamk_f32 v15, v36, 0x3ee437d1, v169
	v_mul_f32_e32 v172, 0xbf4c4adb, v82
	v_fma_f32 v74, 0x3ee437d1, v34, -v167
	v_mul_f32_e32 v168, 0xbf4c4adb, v80
	v_add_f32_e32 v13, v32, v13
	v_fmamk_f32 v32, v39, 0xbe8c1d8e, v171
	v_mul_f32_e32 v164, 0x3eb8f4ab, v112
	v_add_f32_e32 v15, v15, v1
	v_fmamk_f32 v80, v37, 0xbf1a4643, v172
	v_mul_f32_e32 v173, 0x3e3c28d5, v107
	v_add_f32_e32 v74, v74, v0
	v_fma_f32 v82, 0xbf1a4643, v35, -v168
	v_mul_f32_e32 v98, 0x3e3c28d5, v98
	v_add_f32_e32 v13, v32, v13
	v_fmamk_f32 v32, v41, 0x3f6eb680, v164
	v_mul_f32_e32 v165, 0xbf65296c, v114
	v_add_f32_e32 v15, v80, v15
	v_fmamk_f32 v80, v39, 0xbf7ba420, v173
	v_mul_f32_e32 v112, 0x3f763a35, v112
	v_add_f32_e32 v74, v82, v74
	;; [unrolled: 9-line block ×3, first 2 shown]
	v_fma_f32 v82, 0xbe8c1d8e, v40, -v107
	v_mul_f32_e32 v109, 0x3f2c7751, v113
	v_mul_f32_e32 v138, 0xbf4c4adb, v119
	v_add_f32_e32 v13, v32, v13
	v_fmamk_f32 v32, v45, 0xbf59a7d5, v166
	v_mul_f32_e32 v147, 0x3f4c4adb, v118
	v_add_f32_e32 v15, v80, v15
	v_fmamk_f32 v80, v43, 0x3f3d2fb0, v114
	v_mul_f32_e32 v113, 0xbeb8f4ab, v116
	v_add_f32_e32 v86, v82, v74
	v_fma_f32 v116, 0x3f3d2fb0, v42, -v109
	v_mul_f32_e32 v74, 0xbeb8f4ab, v115
	v_fma_f32 v14, 0xbf1a4643, v48, -v138
	v_add_f32_e32 v13, v32, v13
	v_fmamk_f32 v32, v47, 0xbf1a4643, v147
	v_mul_f32_e32 v140, 0x3f2c7751, v120
	v_add_f32_e32 v15, v80, v15
	v_fmamk_f32 v115, v45, 0x3f6eb680, v113
	v_mul_f32_e32 v82, 0xbf7ee86f, v118
	v_add_f32_e32 v116, v116, v86
	v_fma_f32 v118, 0x3f6eb680, v44, -v74
	v_mul_f32_e32 v80, 0xbf7ee86f, v117
	v_add_f32_e32 v10, v14, v10
	v_add_f32_e32 v13, v32, v13
	v_fmamk_f32 v14, v49, 0x3f3d2fb0, v140
	v_add_f32_e32 v15, v115, v15
	v_fmamk_f32 v115, v47, 0x3dbcf732, v82
	v_mul_f32_e32 v86, 0xbf06c442, v120
	v_add_f32_e32 v116, v118, v116
	v_fma_f32 v117, 0x3dbcf732, v46, -v80
	v_add_f32_e32 v13, v14, v13
	v_add_f32_e32 v14, v115, v15
	v_fmamk_f32 v15, v49, 0xbf59a7d5, v86
	v_mul_f32_e32 v118, 0x3dbcf732, v37
	v_add_f32_e32 v116, v117, v116
	v_mul_f32_e32 v117, 0x3f3d2fb0, v36
	v_mul_f32_e32 v32, 0x3f2c7751, v119
	v_add_f32_e32 v15, v15, v14
	v_mul_f32_e32 v14, 0x3f3d2fb0, v34
	;; [unrolled: 3-line block ×3, first 2 shown]
	v_fmac_f32_e32 v108, 0xbf7ba420, v34
	v_sub_f32_e32 v14, v14, v63
	v_add_f32_e32 v63, v69, v118
	v_add_f32_e32 v64, v64, v1
	v_mul_f32_e32 v69, 0xbf1a4643, v39
	v_sub_f32_e32 v67, v119, v67
	v_add_f32_e32 v14, v14, v0
	v_mul_f32_e32 v118, 0xbf1a4643, v38
	v_add_f32_e32 v63, v63, v64
	v_add_f32_e32 v64, v72, v69
	v_mul_f32_e32 v69, 0xbf7ba420, v41
	v_add_f32_e32 v14, v67, v14
	v_sub_f32_e32 v67, v118, v71
	v_mul_f32_e32 v71, 0xbf7ba420, v40
	v_add_f32_e32 v63, v64, v63
	v_add_f32_e32 v64, v77, v69
	v_mul_f32_e32 v69, 0xbf59a7d5, v43
	v_add_f32_e32 v14, v67, v14
	v_sub_f32_e32 v67, v71, v75
	;; [unrolled: 6-line block ×4, first 2 shown]
	v_mul_f32_e32 v69, 0x3ee437d1, v47
	v_add_f32_e32 v63, v64, v63
	v_mul_f32_e32 v64, 0x3ee437d1, v46
	v_add_f32_e32 v54, v54, v75
	v_add_f32_e32 v67, v71, v67
	v_mul_f32_e32 v71, 0x3f6eb680, v36
	v_mul_f32_e32 v75, 0x3f3d2fb0, v35
	v_sub_f32_e32 v64, v64, v99
	v_add_f32_e32 v69, v110, v69
	v_mul_f32_e32 v72, 0x3f6eb680, v49
	v_add_f32_e32 v52, v52, v71
	v_mul_f32_e32 v71, 0x3ee437d1, v39
	;; [unrolled: 2-line block ×3, first 2 shown]
	v_sub_f32_e32 v51, v75, v51
	v_add_f32_e32 v52, v52, v1
	v_add_f32_e32 v63, v69, v63
	;; [unrolled: 1-line block ×3, first 2 shown]
	v_sub_f32_e32 v50, v67, v50
	v_mul_f32_e32 v67, 0x3ee437d1, v38
	v_add_f32_e32 v52, v54, v52
	v_add_f32_e32 v54, v55, v71
	v_mul_f32_e32 v55, 0x3dbcf732, v41
	v_add_f32_e32 v50, v50, v0
	v_mul_f32_e32 v72, 0x3f6eb680, v48
	v_fmac_f32_e32 v105, 0x3f6eb680, v35
	v_add_f32_e32 v52, v54, v52
	v_add_f32_e32 v54, v58, v55
	v_mul_f32_e32 v55, 0xbe8c1d8e, v43
	v_add_f32_e32 v50, v51, v50
	v_sub_f32_e32 v51, v67, v53
	v_mul_f32_e32 v53, 0x3dbcf732, v40
	v_add_f32_e32 v52, v54, v52
	v_add_f32_e32 v54, v61, v55
	v_mul_f32_e32 v55, 0xbf1a4643, v45
	v_add_f32_e32 v50, v51, v50
	v_sub_f32_e32 v51, v53, v56
	v_mul_f32_e32 v56, 0xbe8c1d8e, v42
	;; [unrolled: 6-line block ×3, first 2 shown]
	v_sub_f32_e32 v53, v72, v81
	v_add_f32_e32 v52, v54, v52
	v_add_f32_e32 v54, v68, v55
	;; [unrolled: 1-line block ×3, first 2 shown]
	v_sub_f32_e32 v56, v57, v62
	v_fma_f32 v57, 0xbf7ba420, v36, -v101
	v_add_f32_e32 v50, v53, v64
	v_add_f32_e32 v52, v54, v52
	v_fmac_f32_e32 v103, 0xbf59a7d5, v38
	v_add_f32_e32 v53, v56, v55
	v_add_f32_e32 v54, v57, v1
	v_fma_f32 v55, 0x3f6eb680, v37, -v84
	v_add_f32_e32 v56, v108, v0
	v_mul_f32_e32 v57, 0xbf59a7d5, v46
	v_mul_f32_e32 v58, 0xbf7ba420, v49
	v_fmac_f32_e32 v102, 0x3f3d2fb0, v40
	v_add_f32_e32 v54, v55, v54
	v_fma_f32 v55, 0xbf59a7d5, v39, -v83
	v_add_f32_e32 v56, v105, v56
	v_sub_f32_e32 v57, v57, v59
	v_add_f32_e32 v58, v65, v58
	v_fmac_f32_e32 v104, 0xbf1a4643, v42
	v_add_f32_e32 v54, v55, v54
	v_fma_f32 v55, 0x3f3d2fb0, v41, -v79
	v_add_f32_e32 v56, v103, v56
	v_add_f32_e32 v57, v57, v53
	v_mul_f32_e32 v53, 0xbf7ba420, v48
	v_fmac_f32_e32 v100, 0x3ee437d1, v44
	v_add_f32_e32 v54, v55, v54
	v_fma_f32 v55, 0xbf1a4643, v43, -v78
	v_add_f32_e32 v56, v102, v56
	v_sub_f32_e32 v59, v53, v60
	v_add_f32_e32 v53, v58, v52
	v_fmac_f32_e32 v25, 0xbe8c1d8e, v46
	v_add_f32_e32 v54, v55, v54
	v_fma_f32 v55, 0x3ee437d1, v45, -v76
	v_add_f32_e32 v56, v104, v56
	v_add_f32_e32 v52, v59, v57
	v_fma_f32 v57, 0xbf59a7d5, v36, -v121
	v_fma_f32 v58, 0x3ee437d1, v37, -v122
	v_add_f32_e32 v54, v55, v54
	v_fma_f32 v55, 0xbe8c1d8e, v47, -v73
	v_add_f32_e32 v56, v100, v56
	v_add_f32_e32 v57, v57, v1
	v_fmac_f32_e32 v123, 0xbf59a7d5, v34
	v_fmac_f32_e32 v126, 0x3ee437d1, v35
	v_add_f32_e32 v54, v55, v54
	v_add_f32_e32 v25, v25, v56
	v_fma_f32 v55, 0x3dbcf732, v49, -v70
	v_add_f32_e32 v56, v58, v57
	v_fma_f32 v57, 0x3dbcf732, v39, -v27
	v_add_f32_e32 v58, v123, v0
	v_fmac_f32_e32 v21, 0x3dbcf732, v48
	v_add_f32_e32 v27, v55, v54
	v_fma_f32 v55, 0xbf1a4643, v41, -v26
	v_add_f32_e32 v54, v57, v56
	v_add_f32_e32 v56, v126, v58
	v_fmac_f32_e32 v22, 0x3dbcf732, v38
	v_add_f32_e32 v26, v21, v25
	v_fma_f32 v21, 0xbf1a4643, v36, -v128
	v_add_f32_e32 v25, v55, v54
	v_fma_f32 v24, 0x3f6eb680, v43, -v24
	v_add_f32_e32 v22, v22, v56
	v_fmac_f32_e32 v19, 0xbf1a4643, v40
	v_add_f32_e32 v21, v21, v1
	v_fma_f32 v54, 0xbe8c1d8e, v37, -v129
	v_add_f32_e32 v24, v24, v25
	v_fma_f32 v20, 0xbf7ba420, v45, -v20
	;; [unrolled: 2-line block ×3, first 2 shown]
	v_add_f32_e32 v21, v54, v21
	v_fmac_f32_e32 v31, 0x3f6eb680, v42
	v_add_f32_e32 v20, v20, v24
	v_fma_f32 v16, 0x3f3d2fb0, v47, -v16
	v_fmac_f32_e32 v28, 0xbf7ba420, v44
	v_add_f32_e32 v21, v22, v21
	v_fma_f32 v22, 0xbf59a7d5, v41, -v132
	v_add_f32_e32 v19, v31, v19
	v_add_f32_e32 v16, v16, v20
	v_fma_f32 v18, 0xbe8c1d8e, v49, -v18
	v_fmac_f32_e32 v133, 0xbf1a4643, v34
	v_add_f32_e32 v21, v22, v21
	v_fma_f32 v22, 0x3dbcf732, v43, -v142
	v_add_f32_e32 v20, v28, v19
	v_fmac_f32_e32 v131, 0x3f3d2fb0, v46
	v_add_f32_e32 v24, v133, v0
	v_fmac_f32_e32 v134, 0xbe8c1d8e, v35
	v_add_f32_e32 v19, v18, v16
	v_add_f32_e32 v16, v22, v21
	v_fma_f32 v18, 0x3f3d2fb0, v45, -v148
	v_add_f32_e32 v20, v131, v20
	v_add_f32_e32 v21, v134, v24
	v_fmac_f32_e32 v125, 0x3f6eb680, v38
	v_fmac_f32_e32 v124, 0xbe8c1d8e, v48
	v_add_f32_e32 v16, v18, v16
	v_fma_f32 v22, 0xbf7ba420, v47, -v154
	v_fma_f32 v24, 0xbe8c1d8e, v36, -v155
	v_add_f32_e32 v21, v125, v21
	v_fmac_f32_e32 v127, 0xbf59a7d5, v40
	v_add_f32_e32 v18, v124, v20
	v_add_f32_e32 v16, v22, v16
	;; [unrolled: 1-line block ×3, first 2 shown]
	v_fma_f32 v22, 0xbf59a7d5, v37, -v163
	v_add_f32_e32 v21, v127, v21
	v_fmac_f32_e32 v29, 0x3dbcf732, v42
	v_fmac_f32_e32 v150, 0xbe8c1d8e, v34
	;; [unrolled: 1-line block ×3, first 2 shown]
	v_add_f32_e32 v20, v22, v20
	v_fma_f32 v22, 0x3f3d2fb0, v39, -v156
	v_add_f32_e32 v21, v29, v21
	v_add_f32_e32 v25, v150, v0
	v_fmac_f32_e32 v151, 0xbf59a7d5, v35
	v_fma_f32 v24, 0x3ee437d1, v49, -v146
	v_add_f32_e32 v20, v22, v20
	v_fma_f32 v22, 0x3ee437d1, v41, -v157
	v_add_f32_e32 v28, v30, v21
	v_fmac_f32_e32 v23, 0xbf7ba420, v46
	v_add_f32_e32 v25, v151, v25
	v_fmac_f32_e32 v152, 0x3f3d2fb0, v38
	v_add_f32_e32 v20, v22, v20
	v_fma_f32 v22, 0xbf7ba420, v43, -v158
	v_add_f32_e32 v21, v24, v16
	v_add_f32_e32 v16, v23, v28
	;; [unrolled: 1-line block ×3, first 2 shown]
	v_fmac_f32_e32 v141, 0x3ee437d1, v40
	v_add_f32_e32 v20, v22, v20
	v_fma_f32 v22, 0x3dbcf732, v45, -v159
	v_fma_f32 v24, 0x3dbcf732, v36, -v162
	v_fmac_f32_e32 v17, 0x3ee437d1, v48
	v_add_f32_e32 v23, v141, v23
	v_fmac_f32_e32 v143, 0xbf7ba420, v42
	v_add_f32_e32 v22, v22, v20
	v_fma_f32 v25, 0x3f6eb680, v47, -v153
	v_add_f32_e32 v24, v24, v1
	v_fma_f32 v28, 0xbf7ba420, v37, -v170
	v_add_f32_e32 v23, v143, v23
	v_fmac_f32_e32 v144, 0x3dbcf732, v44
	v_add_f32_e32 v20, v17, v16
	v_add_f32_e32 v16, v25, v22
	;; [unrolled: 1-line block ×3, first 2 shown]
	v_fma_f32 v22, 0xbe8c1d8e, v39, -v171
	v_add_f32_e32 v23, v144, v23
	v_fmac_f32_e32 v136, 0x3f6eb680, v46
	v_fmac_f32_e32 v160, 0x3dbcf732, v34
	v_fma_f32 v24, 0xbf1a4643, v49, -v145
	v_add_f32_e32 v17, v22, v17
	v_fma_f32 v22, 0x3f6eb680, v41, -v164
	v_add_f32_e32 v23, v136, v23
	v_add_f32_e32 v25, v160, v0
	v_fmac_f32_e32 v161, 0xbf7ba420, v35
	v_fmac_f32_e32 v138, 0xbf1a4643, v48
	v_add_f32_e32 v22, v22, v17
	v_fma_f32 v28, 0x3ee437d1, v43, -v165
	v_add_f32_e32 v17, v24, v16
	v_add_f32_e32 v24, v161, v25
	;; [unrolled: 1-line block ×3, first 2 shown]
	v_fma_f32 v23, 0xbf59a7d5, v45, -v166
	v_add_f32_e32 v22, v28, v22
	v_fma_f32 v25, 0x3ee437d1, v36, -v169
	v_fmac_f32_e32 v167, 0x3ee437d1, v34
	v_fmac_f32_e32 v168, 0xbf1a4643, v35
	;; [unrolled: 1-line block ×3, first 2 shown]
	v_add_f32_e32 v22, v23, v22
	v_add_f32_e32 v1, v25, v1
	v_fma_f32 v23, 0xbf1a4643, v37, -v172
	v_add_f32_e32 v0, v167, v0
	v_fmac_f32_e32 v98, 0xbf7ba420, v38
	v_add_f32_e32 v24, v149, v24
	v_fmac_f32_e32 v139, 0x3f6eb680, v40
	v_add_f32_e32 v1, v23, v1
	v_fma_f32 v23, 0xbf7ba420, v39, -v173
	v_add_f32_e32 v0, v168, v0
	v_fmac_f32_e32 v107, 0xbe8c1d8e, v40
	v_add_f32_e32 v24, v139, v24
	v_fmac_f32_e32 v137, 0x3ee437d1, v42
	;; [unrolled: 6-line block ×3, first 2 shown]
	v_add_f32_e32 v1, v23, v1
	v_fma_f32 v23, 0x3f3d2fb0, v43, -v114
	v_add_f32_e32 v0, v107, v0
	v_fmac_f32_e32 v74, 0x3f6eb680, v44
	v_fma_f32 v25, 0xbf1a4643, v47, -v147
	v_add_f32_e32 v24, v135, v24
	v_add_f32_e32 v1, v23, v1
	v_fma_f32 v23, 0x3f6eb680, v45, -v113
	v_add_f32_e32 v0, v109, v0
	v_fmac_f32_e32 v33, 0xbf1a4643, v46
	v_fma_f32 v28, 0x3dbcf732, v47, -v82
	v_fmac_f32_e32 v80, 0x3dbcf732, v46
	v_add_f32_e32 v1, v23, v1
	v_mul_lo_u16 v23, v95, 17
	v_add_f32_e32 v0, v74, v0
	v_fma_f32 v117, 0xbf59a7d5, v48, -v115
	v_fma_f32 v174, 0x3f3d2fb0, v48, -v32
	v_add_f32_e32 v22, v25, v22
	v_and_b32_e32 v23, 0xffff, v23
	v_fma_f32 v25, 0x3f3d2fb0, v49, -v140
	v_add_f32_e32 v24, v33, v24
	v_fmac_f32_e32 v32, 0x3f3d2fb0, v48
	v_add_f32_e32 v28, v28, v1
	v_fma_f32 v29, 0xbf59a7d5, v49, -v86
	v_add_f32_e32 v30, v80, v0
	v_fmac_f32_e32 v115, 0xbf59a7d5, v48
	v_add_lshl_u32 v31, v94, v23, 3
	v_add_f32_e32 v14, v117, v116
	v_add_f32_e32 v51, v69, v63
	;; [unrolled: 1-line block ×7, first 2 shown]
	ds_write2_b64 v31, v[6:7], v[52:53] offset1:1
	ds_write2_b64 v31, v[50:51], v[14:15] offset0:2 offset1:3
	ds_write2_b64 v31, v[12:13], v[10:11] offset0:4 offset1:5
	;; [unrolled: 1-line block ×7, first 2 shown]
	ds_write_b64 v31, v[89:90] offset:128
.LBB0_7:
	s_or_b32 exec_lo, exec_lo, s4
	v_add_co_u32 v36, null, 0x66, v95
	v_and_b32_e32 v0, 0xff, v95
	v_add_co_u32 v38, null, 0x99, v95
	v_and_b32_e32 v32, 0xff, v36
	v_add_co_u32 v37, null, 0xcc, v95
	v_mul_lo_u16 v0, 0xf1, v0
	v_and_b32_e32 v2, 0xff, v38
	v_mul_lo_u16 v1, 0xf1, v32
	v_add_co_u32 v39, null, v95, 51
	v_lshrrev_b16 v55, 12, v0
	v_and_b32_e32 v0, 0xff, v37
	v_lshrrev_b16 v56, 12, v1
	v_mul_lo_u16 v1, 0xf1, v2
	v_and_b32_e32 v3, 0xff, v39
	v_mul_lo_u16 v2, v55, 17
	v_mul_lo_u16 v0, 0xf1, v0
	v_mov_b32_e32 v12, 4
	v_lshrrev_b16 v57, 12, v1
	v_mul_lo_u16 v1, v56, 17
	v_sub_nc_u16 v63, v95, v2
	v_lshrrev_b16 v58, 12, v0
	s_load_dwordx4 s[4:7], s[0:1], 0x0
	v_mul_lo_u16 v0, v57, 17
	v_sub_nc_u16 v59, v36, v1
	v_mul_lo_u16 v1, 0xf1, v3
	v_mul_lo_u16 v2, v58, 17
	s_waitcnt lgkmcnt(0)
	v_sub_nc_u16 v64, v38, v0
	v_lshlrev_b32_sdwa v0, v12, v59 dst_sel:DWORD dst_unused:UNUSED_PAD src0_sel:DWORD src1_sel:BYTE_0
	v_lshrrev_b16 v65, 12, v1
	v_sub_nc_u16 v66, v37, v2
	v_lshlrev_b16 v1, 1, v63
	v_lshlrev_b32_sdwa v2, v12, v64 dst_sel:DWORD dst_unused:UNUSED_PAD src0_sel:DWORD src1_sel:BYTE_0
	s_barrier
	buffer_gl0_inv
	global_load_dwordx4 v[8:11], v0, s[2:3]
	v_and_b32_e32 v1, 0xfe, v1
	global_load_dwordx4 v[4:7], v2, s[2:3]
	v_mul_lo_u16 v0, v65, 17
	v_lshlrev_b32_sdwa v3, v12, v66 dst_sel:DWORD dst_unused:UNUSED_PAD src0_sel:DWORD src1_sel:BYTE_0
	v_add_lshl_u32 v97, v94, v95, 3
	v_lshlrev_b32_e32 v13, 3, v1
	v_mul_lo_u16 v69, 0xa1, v32
	v_sub_nc_u16 v67, v39, v0
	global_load_dwordx4 v[0:3], v3, s[2:3]
	v_add_nc_u32_e32 v62, 0xc00, v97
	v_add_nc_u32_e32 v60, 0x800, v97
	;; [unrolled: 1-line block ×3, first 2 shown]
	v_lshlrev_b32_sdwa v12, v12, v67 dst_sel:DWORD dst_unused:UNUSED_PAD src0_sel:DWORD src1_sel:BYTE_0
	v_mov_b32_e32 v68, 51
	s_clause 0x1
	global_load_dwordx4 v[16:19], v13, s[2:3]
	global_load_dwordx4 v[12:15], v12, s[2:3]
	ds_read2_b64 v[20:23], v97 offset1:51
	ds_read2_b64 v[24:27], v97 offset0:204 offset1:255
	ds_read2_b64 v[28:31], v97 offset0:102 offset1:153
	ds_read_b64 v[53:54], v97 offset:5712
	ds_read2_b64 v[32:35], v62 offset0:126 offset1:177
	ds_read2_b64 v[41:44], v60 offset0:50 offset1:101
	;; [unrolled: 1-line block ×4, first 2 shown]
	v_mad_u16 v55, v55, 51, v63
	v_mul_u32_u24_sdwa v56, v56, v68 dst_sel:DWORD dst_unused:UNUSED_PAD src0_sel:WORD_0 src1_sel:DWORD
	v_mul_u32_u24_sdwa v57, v57, v68 dst_sel:DWORD dst_unused:UNUSED_PAD src0_sel:WORD_0 src1_sel:DWORD
	v_mul_u32_u24_sdwa v58, v58, v68 dst_sel:DWORD dst_unused:UNUSED_PAD src0_sel:WORD_0 src1_sel:DWORD
	v_mul_u32_u24_sdwa v65, v65, v68 dst_sel:DWORD dst_unused:UNUSED_PAD src0_sel:WORD_0 src1_sel:DWORD
	v_and_b32_e32 v55, 0xff, v55
	v_add_nc_u32_sdwa v56, v56, v59 dst_sel:DWORD dst_unused:UNUSED_PAD src0_sel:DWORD src1_sel:BYTE_0
	v_add_nc_u32_sdwa v57, v57, v64 dst_sel:DWORD dst_unused:UNUSED_PAD src0_sel:DWORD src1_sel:BYTE_0
	;; [unrolled: 1-line block ×4, first 2 shown]
	v_lshrrev_b16 v69, 13, v69
	v_add_lshl_u32 v103, v94, v55, 3
	v_add_lshl_u32 v101, v94, v56, 3
	;; [unrolled: 1-line block ×5, first 2 shown]
	v_mul_lo_u16 v63, v69, 51
	s_waitcnt vmcnt(0) lgkmcnt(0)
	s_barrier
	buffer_gl0_inv
	v_lshlrev_b32_e32 v40, 5, v95
	v_lshlrev_b32_e32 v38, 4, v38
	v_mul_f32_e32 v55, v44, v9
	v_mul_f32_e32 v56, v43, v9
	;; [unrolled: 1-line block ×8, first 2 shown]
	v_fma_f32 v43, v43, v8, -v55
	v_mul_f32_e32 v67, v52, v1
	v_mul_f32_e32 v68, v51, v1
	;; [unrolled: 1-line block ×4, first 2 shown]
	v_fmac_f32_e32 v56, v44, v8
	v_fma_f32 v44, v45, v10, -v57
	v_fmac_f32_e32 v58, v46, v10
	v_mul_f32_e32 v71, v27, v17
	v_mul_f32_e32 v72, v26, v17
	;; [unrolled: 1-line block ×8, first 2 shown]
	v_fma_f32 v45, v49, v4, -v59
	v_fma_f32 v26, v26, v16, -v71
	v_fmac_f32_e32 v72, v27, v16
	v_fma_f32 v49, v32, v18, -v73
	v_fmac_f32_e32 v74, v33, v18
	v_fmac_f32_e32 v64, v50, v4
	v_fma_f32 v46, v47, v6, -v65
	v_fma_f32 v27, v41, v12, -v75
	v_fmac_f32_e32 v76, v42, v12
	v_fma_f32 v50, v34, v14, -v77
	v_fmac_f32_e32 v78, v35, v14
	v_fmac_f32_e32 v66, v48, v6
	v_fma_f32 v47, v51, v0, -v67
	v_fmac_f32_e32 v68, v52, v0
	v_fma_f32 v48, v53, v2, -v69
	v_fmac_f32_e32 v70, v54, v2
	v_add_f32_e32 v33, v43, v44
	v_add_f32_e32 v35, v56, v58
	;; [unrolled: 1-line block ×6, first 2 shown]
	v_sub_f32_e32 v77, v76, v78
	v_add_f32_e32 v79, v23, v76
	v_add_f32_e32 v76, v76, v78
	;; [unrolled: 1-line block ×3, first 2 shown]
	v_sub_f32_e32 v51, v56, v58
	v_add_f32_e32 v34, v29, v56
	v_sub_f32_e32 v52, v43, v44
	v_add_f32_e32 v41, v30, v45
	;; [unrolled: 2-line block ×3, first 2 shown]
	v_add_f32_e32 v54, v64, v66
	v_sub_f32_e32 v55, v45, v46
	v_add_f32_e32 v45, v24, v47
	v_add_f32_e32 v56, v47, v48
	v_sub_f32_e32 v57, v68, v70
	v_add_f32_e32 v59, v25, v68
	;; [unrolled: 3-line block ×3, first 2 shown]
	v_sub_f32_e32 v68, v72, v74
	v_add_f32_e32 v69, v21, v72
	v_sub_f32_e32 v72, v26, v49
	v_fma_f32 v28, -0.5, v33, v28
	v_fma_f32 v29, -0.5, v35, v29
	;; [unrolled: 1-line block ×4, first 2 shown]
	v_add_f32_e32 v73, v22, v27
	v_sub_f32_e32 v80, v27, v50
	v_fma_f32 v30, -0.5, v42, v30
	v_fma_f32 v22, -0.5, v75, v22
	v_fmac_f32_e32 v23, -0.5, v76
	v_add_f32_e32 v26, v32, v44
	v_add_f32_e32 v27, v34, v58
	;; [unrolled: 1-line block ×3, first 2 shown]
	v_fmac_f32_e32 v31, -0.5, v54
	v_add_f32_e32 v34, v45, v48
	v_fma_f32 v24, -0.5, v56, v24
	v_fmac_f32_e32 v25, -0.5, v64
	v_add_f32_e32 v41, v47, v49
	v_add_f32_e32 v42, v69, v74
	v_fmamk_f32 v45, v51, 0x3f5db3d7, v28
	v_fmac_f32_e32 v28, 0xbf5db3d7, v51
	v_fmamk_f32 v46, v52, 0xbf5db3d7, v29
	v_fmac_f32_e32 v29, 0x3f5db3d7, v52
	v_fmamk_f32 v51, v68, 0x3f5db3d7, v20
	v_fmamk_f32 v52, v72, 0xbf5db3d7, v21
	v_fmac_f32_e32 v20, 0xbf5db3d7, v68
	v_fmac_f32_e32 v21, 0x3f5db3d7, v72
	v_add_f32_e32 v33, v43, v66
	v_add_f32_e32 v43, v73, v50
	;; [unrolled: 1-line block ×3, first 2 shown]
	v_fmamk_f32 v47, v53, 0x3f5db3d7, v30
	v_fmac_f32_e32 v30, 0xbf5db3d7, v53
	v_fmamk_f32 v53, v77, 0x3f5db3d7, v22
	v_fmamk_f32 v54, v80, 0xbf5db3d7, v23
	v_fmac_f32_e32 v22, 0xbf5db3d7, v77
	v_fmac_f32_e32 v23, 0x3f5db3d7, v80
	v_add_f32_e32 v35, v59, v70
	v_fmamk_f32 v48, v55, 0xbf5db3d7, v31
	v_fmac_f32_e32 v31, 0x3f5db3d7, v55
	v_fmamk_f32 v49, v57, 0x3f5db3d7, v24
	v_fmac_f32_e32 v24, 0xbf5db3d7, v57
	;; [unrolled: 2-line block ×3, first 2 shown]
	ds_write2_b64 v103, v[41:42], v[51:52] offset1:17
	ds_write_b64 v103, v[20:21] offset:272
	ds_write2_b64 v102, v[43:44], v[53:54] offset1:17
	ds_write_b64 v102, v[22:23] offset:272
	;; [unrolled: 2-line block ×5, first 2 shown]
	v_sub_nc_u16 v20, v36, v63
	s_waitcnt lgkmcnt(0)
	s_barrier
	buffer_gl0_inv
	s_clause 0x1
	global_load_dwordx4 v[32:35], v40, s[2:3] offset:272
	global_load_dwordx4 v[24:27], v40, s[2:3] offset:288
	v_and_b32_e32 v53, 0xff, v20
	v_lshlrev_b32_e32 v57, 4, v95
	v_add_co_u32 v40, s0, s2, v40
	v_add_co_ci_u32_e64 v58, null, s3, 0, s0
	v_lshlrev_b32_e32 v20, 5, v53
	s_clause 0x1
	global_load_dwordx4 v[28:31], v20, s[2:3] offset:272
	global_load_dwordx4 v[20:23], v20, s[2:3] offset:288
	ds_read2_b64 v[41:44], v97 offset0:102 offset1:153
	ds_read2_b64 v[45:48], v60 offset0:50 offset1:101
	;; [unrolled: 1-line block ×3, first 2 shown]
	v_add_lshl_u32 v98, v94, v53, 3
	ds_read2_b64 v[53:56], v61 offset0:100 offset1:151
	ds_read2_b64 v[63:66], v97 offset0:204 offset1:255
	v_lshlrev_b32_e32 v59, 4, v39
	v_sub_co_u32 v39, s0, v40, v57
	ds_read2_b64 v[67:70], v62 offset0:126 offset1:177
	v_subrev_co_ci_u32_e64 v40, s0, 0, v58, s0
	ds_read2_b64 v[71:74], v97 offset1:51
	ds_read_b64 v[57:58], v97 offset:5712
	v_lshlrev_b32_e32 v36, 4, v36
	v_add_nc_u32_e32 v75, 0xc00, v98
	v_add_nc_u32_e32 v76, 0x1000, v98
	s_waitcnt vmcnt(0) lgkmcnt(0)
	s_barrier
	buffer_gl0_inv
	v_mul_f32_e32 v77, v44, v33
	v_mul_f32_e32 v78, v43, v33
	v_mul_f32_e32 v79, v46, v35
	v_mul_f32_e32 v80, v45, v35
	v_mul_f32_e32 v81, v52, v25
	v_mul_f32_e32 v82, v51, v25
	v_mul_f32_e32 v83, v54, v27
	v_mul_f32_e32 v84, v53, v27
	v_mul_f32_e32 v85, v64, v33
	v_mul_f32_e32 v86, v63, v33
	v_mul_f32_e32 v87, v48, v35
	v_mul_f32_e32 v104, v47, v35
	v_mul_f32_e32 v105, v68, v25
	v_mul_f32_e32 v106, v67, v25
	v_mul_f32_e32 v107, v56, v27
	v_mul_f32_e32 v108, v55, v27
	v_mul_f32_e32 v109, v66, v29
	v_mul_f32_e32 v111, v50, v31
	v_mul_f32_e32 v112, v49, v31
	v_mul_f32_e32 v113, v70, v21
	v_mul_f32_e32 v114, v69, v21
	v_mul_f32_e32 v110, v65, v29
	v_mul_f32_e32 v115, v58, v23
	v_mul_f32_e32 v116, v57, v23
	v_fma_f32 v43, v43, v32, -v77
	v_fmac_f32_e32 v78, v44, v32
	v_fma_f32 v44, v45, v34, -v79
	v_fmac_f32_e32 v80, v46, v34
	;; [unrolled: 2-line block ×8, first 2 shown]
	v_fma_f32 v46, v65, v28, -v109
	v_fma_f32 v49, v49, v30, -v111
	v_fmac_f32_e32 v112, v50, v30
	v_fma_f32 v64, v69, v20, -v113
	v_fmac_f32_e32 v114, v70, v20
	v_fmac_f32_e32 v110, v66, v28
	v_fma_f32 v81, v57, v22, -v115
	v_fmac_f32_e32 v116, v58, v22
	v_add_f32_e32 v48, v71, v43
	v_add_f32_e32 v50, v44, v51
	v_sub_f32_e32 v52, v43, v44
	v_sub_f32_e32 v53, v77, v51
	v_add_f32_e32 v57, v72, v78
	v_add_f32_e32 v58, v80, v82
	;; [unrolled: 1-line block ×4, first 2 shown]
	v_sub_f32_e32 v55, v44, v43
	v_sub_f32_e32 v56, v51, v77
	v_add_f32_e32 v87, v73, v45
	v_add_f32_e32 v105, v47, v63
	;; [unrolled: 1-line block ×6, first 2 shown]
	v_sub_f32_e32 v65, v78, v80
	v_sub_f32_e32 v66, v84, v82
	v_add_f32_e32 v127, v41, v46
	v_add_f32_e32 v128, v49, v64
	;; [unrolled: 1-line block ×3, first 2 shown]
	v_sub_f32_e32 v68, v78, v84
	v_sub_f32_e32 v70, v43, v77
	;; [unrolled: 1-line block ×3, first 2 shown]
	v_add_f32_e32 v133, v46, v81
	v_add_f32_e32 v136, v42, v110
	;; [unrolled: 1-line block ×4, first 2 shown]
	v_fma_f32 v43, -0.5, v50, v71
	v_add_f32_e32 v145, v52, v53
	v_add_f32_e32 v52, v57, v80
	v_fma_f32 v44, -0.5, v58, v72
	v_sub_f32_e32 v69, v80, v82
	v_sub_f32_e32 v111, v45, v47
	v_sub_f32_e32 v117, v47, v45
	v_sub_f32_e32 v121, v45, v79
	v_sub_f32_e32 v131, v46, v49
	v_sub_f32_e32 v134, v49, v46
	v_sub_f32_e32 v138, v46, v81
	v_fma_f32 v45, -0.5, v54, v71
	v_fma_f32 v46, -0.5, v67, v72
	v_sub_f32_e32 v107, v86, v108
	v_sub_f32_e32 v109, v104, v106
	;; [unrolled: 1-line block ×3, first 2 shown]
	v_add_f32_e32 v146, v55, v56
	v_add_f32_e32 v55, v87, v47
	v_fma_f32 v47, -0.5, v105, v73
	v_fma_f32 v73, -0.5, v115, v73
	v_add_f32_e32 v56, v119, v104
	v_fma_f32 v48, -0.5, v120, v74
	v_fmac_f32_e32 v74, -0.5, v125
	v_sub_f32_e32 v78, v80, v78
	v_sub_f32_e32 v129, v110, v116
	v_sub_f32_e32 v139, v49, v64
	v_add_f32_e32 v80, v65, v66
	v_add_f32_e32 v65, v127, v49
	v_fma_f32 v49, -0.5, v128, v41
	v_fma_f32 v50, -0.5, v137, v42
	v_sub_f32_e32 v85, v82, v84
	v_sub_f32_e32 v113, v79, v63
	;; [unrolled: 1-line block ×3, first 2 shown]
	v_fma_f32 v41, -0.5, v133, v41
	v_add_f32_e32 v66, v136, v112
	v_fmac_f32_e32 v42, -0.5, v142
	v_add_f32_e32 v67, v144, v51
	v_fmamk_f32 v51, v68, 0x3f737871, v43
	v_add_f32_e32 v71, v52, v82
	v_fmamk_f32 v52, v70, 0xbf737871, v44
	v_fmamk_f32 v53, v69, 0xbf737871, v45
	v_fmac_f32_e32 v45, 0x3f737871, v69
	v_fmamk_f32 v54, v83, 0x3f737871, v46
	v_fmac_f32_e32 v46, 0xbf737871, v83
	v_fmac_f32_e32 v43, 0xbf737871, v68
	;; [unrolled: 1-line block ×3, first 2 shown]
	v_sub_f32_e32 v118, v63, v79
	v_sub_f32_e32 v123, v86, v104
	;; [unrolled: 1-line block ×5, first 2 shown]
	v_add_f32_e32 v72, v55, v63
	v_fmamk_f32 v55, v107, 0x3f737871, v47
	v_fmamk_f32 v57, v109, 0xbf737871, v73
	v_add_f32_e32 v82, v56, v106
	v_fmamk_f32 v56, v121, 0xbf737871, v48
	v_fmamk_f32 v58, v122, 0x3f737871, v74
	v_sub_f32_e32 v132, v81, v64
	v_sub_f32_e32 v135, v64, v81
	;; [unrolled: 1-line block ×4, first 2 shown]
	v_fmac_f32_e32 v47, 0xbf737871, v107
	v_fmac_f32_e32 v73, 0x3f737871, v109
	;; [unrolled: 1-line block ×4, first 2 shown]
	v_add_f32_e32 v106, v65, v64
	v_fmamk_f32 v63, v129, 0x3f737871, v49
	v_fmac_f32_e32 v49, 0xbf737871, v129
	v_fmamk_f32 v64, v138, 0xbf737871, v50
	v_fmac_f32_e32 v50, 0x3f737871, v138
	v_sub_f32_e32 v110, v112, v110
	v_sub_f32_e32 v143, v114, v116
	v_add_f32_e32 v78, v78, v85
	v_add_f32_e32 v85, v111, v113
	v_fmamk_f32 v65, v130, 0xbf737871, v41
	v_fmac_f32_e32 v41, 0x3f737871, v130
	v_add_f32_e32 v113, v66, v114
	v_fmamk_f32 v66, v139, 0x3f737871, v42
	v_fmac_f32_e32 v42, 0xbf737871, v139
	v_fmac_f32_e32 v51, 0x3f167918, v69
	;; [unrolled: 1-line block ×9, first 2 shown]
	v_add_f32_e32 v87, v117, v118
	v_add_f32_e32 v104, v123, v124
	;; [unrolled: 1-line block ×3, first 2 shown]
	v_fmac_f32_e32 v55, 0x3f167918, v109
	v_fmac_f32_e32 v57, 0x3f167918, v107
	v_fmac_f32_e32 v56, 0xbf167918, v122
	v_fmac_f32_e32 v58, 0xbf167918, v121
	v_add_f32_e32 v105, v131, v132
	v_add_f32_e32 v112, v140, v141
	v_fmac_f32_e32 v47, 0xbf167918, v109
	v_fmac_f32_e32 v73, 0xbf167918, v107
	;; [unrolled: 1-line block ×6, first 2 shown]
	v_add_f32_e32 v111, v134, v135
	v_add_f32_e32 v110, v110, v143
	;; [unrolled: 1-line block ×4, first 2 shown]
	v_fmac_f32_e32 v63, 0x3f167918, v130
	v_fmac_f32_e32 v65, 0x3f167918, v129
	;; [unrolled: 1-line block ×12, first 2 shown]
	v_add_f32_e32 v69, v72, v79
	v_add_f32_e32 v70, v82, v108
	v_fmac_f32_e32 v43, 0x3e9e377a, v145
	v_fmac_f32_e32 v44, 0x3e9e377a, v80
	;; [unrolled: 1-line block ×12, first 2 shown]
	v_add_f32_e32 v71, v106, v81
	v_add_f32_e32 v72, v113, v116
	v_fmac_f32_e32 v63, 0x3e9e377a, v105
	v_fmac_f32_e32 v65, 0x3e9e377a, v111
	;; [unrolled: 1-line block ×6, first 2 shown]
	ds_write2_b64 v97, v[67:68], v[51:52] offset1:51
	ds_write2_b64 v97, v[53:54], v[45:46] offset0:102 offset1:153
	ds_write2_b64 v97, v[43:44], v[69:70] offset0:204 offset1:255
	;; [unrolled: 1-line block ×6, first 2 shown]
	ds_write_b64 v98, v[49:50] offset:5712
	s_waitcnt lgkmcnt(0)
	s_barrier
	buffer_gl0_inv
	s_clause 0x1
	global_load_dwordx4 v[48:51], v59, s[2:3] offset:1904
	global_load_dwordx4 v[44:47], v36, s[2:3] offset:1904
	v_lshlrev_b32_e32 v36, 4, v37
	s_clause 0x2
	global_load_dwordx4 v[52:55], v[39:40], off offset:1904
	global_load_dwordx4 v[40:43], v38, s[2:3] offset:1904
	global_load_dwordx4 v[36:39], v36, s[2:3] offset:1904
	ds_read2_b64 v[56:59], v97 offset0:204 offset1:255
	ds_read2_b64 v[62:65], v62 offset0:126 offset1:177
	;; [unrolled: 1-line block ×5, first 2 shown]
	ds_read2_b64 v[80:83], v97 offset1:51
	ds_read_b64 v[60:61], v97 offset:5712
	ds_read2_b64 v[76:79], v97 offset0:102 offset1:153
	v_lshlrev_b32_e32 v104, 3, v95
	v_lshl_add_u32 v105, v95, 3, v96
	v_add_nc_u32_e32 v106, v104, v96
	v_add_nc_u32_e32 v107, 0x400, v105
	;; [unrolled: 1-line block ×3, first 2 shown]
	s_waitcnt vmcnt(4) lgkmcnt(5)
	v_mul_f32_e32 v111, v67, v49
	v_mul_f32_e32 v112, v66, v49
	v_mul_f32_e32 v113, v65, v51
	s_waitcnt vmcnt(2)
	v_mul_f32_e32 v74, v59, v53
	v_mul_f32_e32 v75, v58, v53
	;; [unrolled: 1-line block ×7, first 2 shown]
	s_waitcnt lgkmcnt(4)
	v_mul_f32_e32 v117, v71, v47
	v_mul_f32_e32 v118, v70, v47
	s_waitcnt vmcnt(1) lgkmcnt(3)
	v_mul_f32_e32 v119, v85, v41
	v_mul_f32_e32 v120, v84, v41
	;; [unrolled: 1-line block ×4, first 2 shown]
	s_waitcnt vmcnt(0)
	v_mul_f32_e32 v123, v87, v37
	v_mul_f32_e32 v124, v86, v37
	s_waitcnt lgkmcnt(1)
	v_mul_f32_e32 v125, v61, v39
	v_mul_f32_e32 v126, v60, v39
	v_fma_f32 v58, v58, v52, -v74
	v_fmac_f32_e32 v75, v59, v52
	v_fma_f32 v59, v62, v54, -v109
	v_fmac_f32_e32 v110, v63, v54
	;; [unrolled: 2-line block ×10, first 2 shown]
	v_add_f32_e32 v60, v80, v58
	v_add_f32_e32 v61, v58, v59
	;; [unrolled: 1-line block ×9, first 2 shown]
	v_sub_f32_e32 v119, v120, v122
	s_waitcnt lgkmcnt(0)
	v_add_f32_e32 v121, v79, v120
	v_add_f32_e32 v120, v120, v122
	;; [unrolled: 1-line block ×3, first 2 shown]
	v_sub_f32_e32 v128, v124, v126
	v_add_f32_e32 v129, v57, v124
	v_add_f32_e32 v124, v124, v126
	v_sub_f32_e32 v74, v75, v110
	v_sub_f32_e32 v58, v58, v59
	v_add_f32_e32 v71, v82, v62
	v_sub_f32_e32 v75, v112, v114
	v_add_f32_e32 v84, v83, v112
	;; [unrolled: 2-line block ×7, first 2 shown]
	v_fma_f32 v60, -0.5, v61, v80
	v_add_f32_e32 v65, v69, v110
	v_fma_f32 v61, -0.5, v70, v81
	v_fma_f32 v82, -0.5, v73, v82
	v_fmac_f32_e32 v83, -0.5, v85
	v_fma_f32 v68, -0.5, v109, v76
	v_fma_f32 v69, -0.5, v113, v77
	;; [unrolled: 1-line block ×3, first 2 shown]
	v_fmac_f32_e32 v79, -0.5, v120
	v_fma_f32 v56, -0.5, v127, v56
	v_fmac_f32_e32 v57, -0.5, v124
	v_add_f32_e32 v62, v71, v63
	v_add_f32_e32 v63, v84, v114
	;; [unrolled: 1-line block ×8, first 2 shown]
	v_fmamk_f32 v66, v74, 0x3f5db3d7, v60
	v_fmac_f32_e32 v60, 0xbf5db3d7, v74
	v_fmamk_f32 v67, v58, 0xbf5db3d7, v61
	v_fmac_f32_e32 v61, 0x3f5db3d7, v58
	;; [unrolled: 2-line block ×10, first 2 shown]
	ds_write2_b64 v105, v[64:65], v[62:63] offset1:51
	ds_write_b64 v105, v[84:85] offset:816
	ds_write2_b64 v107, v[66:67], v[80:81] offset0:127 offset1:178
	ds_write2_b64 v108, v[60:61], v[82:83] offset0:126 offset1:177
	ds_write_b64 v106, v[86:87] offset:2856
	ds_write_b64 v106, v[68:69] offset:4896
	;; [unrolled: 1-line block ×8, first 2 shown]
	s_waitcnt lgkmcnt(0)
	s_barrier
	buffer_gl0_inv
	s_and_saveexec_b32 s1, vcc_lo
	s_cbranch_execz .LBB0_9
; %bb.8:
	v_add_co_u32 v111, s0, s12, v93
	v_add_co_ci_u32_e64 v112, null, s13, 0, s0
	v_add_nc_u32_e32 v175, 0x800, v105
	v_add_co_u32 v58, s0, 0x1000, v111
	v_add_co_ci_u32_e64 v59, s0, 0, v112, s0
	v_add_co_u32 v107, s0, 0x17e8, v111
	v_add_co_ci_u32_e64 v108, s0, 0, v112, s0
	;; [unrolled: 2-line block ×3, first 2 shown]
	s_clause 0x9
	global_load_dwordx2 v[58:59], v[58:59], off offset:2024
	global_load_dwordx2 v[139:140], v[107:108], off offset:360
	;; [unrolled: 1-line block ×10, first 2 shown]
	v_add_co_u32 v107, s0, 0x2800, v111
	v_add_co_ci_u32_e64 v108, s0, 0, v112, s0
	s_clause 0x6
	global_load_dwordx2 v[157:158], v[109:110], off offset:1528
	global_load_dwordx2 v[159:160], v[109:110], off offset:1888
	;; [unrolled: 1-line block ×7, first 2 shown]
	ds_read2_b64 v[107:110], v105 offset1:45
	ds_read2_b64 v[111:114], v105 offset0:90 offset1:135
	ds_read2_b64 v[115:118], v105 offset0:180 offset1:225
	;; [unrolled: 1-line block ×3, first 2 shown]
	v_add_nc_u32_e32 v176, 0x1000, v105
	ds_read_b64 v[171:172], v105 offset:5760
	ds_read2_b64 v[123:126], v175 offset0:104 offset1:149
	ds_read2_b64 v[127:130], v175 offset0:194 offset1:239
	;; [unrolled: 1-line block ×4, first 2 shown]
	s_waitcnt vmcnt(14) lgkmcnt(7)
	v_mul_f32_e32 v178, v112, v142
	s_waitcnt vmcnt(13)
	v_mul_f32_e32 v179, v114, v144
	s_waitcnt vmcnt(12) lgkmcnt(6)
	v_mul_f32_e32 v180, v116, v146
	s_waitcnt vmcnt(11) lgkmcnt(5)
	v_mul_f32_e32 v182, v120, v148
	s_waitcnt vmcnt(10)
	v_mul_f32_e32 v183, v122, v150
	v_mul_f32_e32 v173, v108, v59
	;; [unrolled: 1-line block ×8, first 2 shown]
	s_waitcnt vmcnt(9)
	v_mul_f32_e32 v181, v118, v152
	v_mul_f32_e32 v146, v117, v152
	;; [unrolled: 1-line block ×4, first 2 shown]
	s_waitcnt vmcnt(8) lgkmcnt(3)
	v_mul_f32_e32 v184, v124, v154
	v_mul_f32_e32 v150, v123, v154
	s_waitcnt vmcnt(7)
	v_mul_f32_e32 v185, v126, v156
	v_mul_f32_e32 v154, v125, v156
	s_waitcnt vmcnt(6) lgkmcnt(2)
	v_mul_f32_e32 v186, v128, v158
	v_mul_f32_e32 v156, v127, v158
	s_waitcnt vmcnt(5)
	v_mul_f32_e32 v187, v130, v160
	v_mul_f32_e32 v158, v129, v160
	;; [unrolled: 6-line block ×4, first 2 shown]
	s_waitcnt vmcnt(0)
	v_mul_f32_e32 v192, v172, v170
	v_mul_f32_e32 v168, v171, v170
	v_fma_f32 v173, v107, v58, -v173
	v_fmac_f32_e32 v174, v108, v58
	v_fma_f32 v58, v109, v139, -v177
	v_fmac_f32_e32 v59, v110, v139
	;; [unrolled: 2-line block ×17, first 2 shown]
	ds_write2_b64 v105, v[173:174], v[58:59] offset1:45
	ds_write2_b64 v105, v[139:140], v[141:142] offset0:90 offset1:135
	ds_write2_b64 v105, v[143:144], v[145:146] offset0:180 offset1:225
	;; [unrolled: 1-line block ×7, first 2 shown]
	ds_write_b64 v105, v[167:168] offset:5760
.LBB0_9:
	s_or_b32 exec_lo, exec_lo, s1
	s_waitcnt lgkmcnt(0)
	s_barrier
	buffer_gl0_inv
	s_and_saveexec_b32 s0, vcc_lo
	s_cbranch_execz .LBB0_11
; %bb.10:
	v_add_nc_u32_e32 v72, 0x1000, v105
	ds_read2_b64 v[64:67], v105 offset1:45
	v_add_nc_u32_e32 v73, 0x800, v105
	ds_read2_b64 v[60:63], v105 offset0:90 offset1:135
	ds_read2_b64 v[56:59], v72 offset0:118 offset1:163
	;; [unrolled: 1-line block ×3, first 2 shown]
	ds_read_b64 v[89:90], v105 offset:5760
	ds_read2_b64 v[84:87], v73 offset0:14 offset1:59
	ds_read2_b64 v[68:71], v73 offset0:104 offset1:149
	;; [unrolled: 1-line block ×4, first 2 shown]
	s_waitcnt lgkmcnt(6)
	v_mov_b32_e32 v91, v58
	v_mov_b32_e32 v92, v59
.LBB0_11:
	s_or_b32 exec_lo, exec_lo, s0
	v_add_nc_u32_e32 v108, 0x330, v106
	v_add_nc_u32_e32 v107, 0x4c8, v106
	;; [unrolled: 1-line block ×3, first 2 shown]
	s_waitcnt lgkmcnt(0)
	s_barrier
	buffer_gl0_inv
	s_and_saveexec_b32 s0, vcc_lo
	s_cbranch_execz .LBB0_13
; %bb.12:
	v_add_f32_e32 v58, v67, v65
	v_add_f32_e32 v59, v66, v64
	;; [unrolled: 1-line block ×3, first 2 shown]
	v_sub_f32_e32 v109, v84, v78
	v_add_f32_e32 v117, v77, v87
	v_add_f32_e32 v58, v61, v58
	;; [unrolled: 1-line block ×3, first 2 shown]
	v_sub_f32_e32 v118, v83, v73
	v_add_f32_e32 v114, v75, v81
	v_sub_f32_e32 v111, v80, v74
	v_add_f32_e32 v58, v63, v58
	v_add_f32_e32 v59, v62, v59
	v_sub_f32_e32 v110, v82, v72
	v_sub_f32_e32 v115, v81, v75
	v_add_f32_e32 v112, v74, v80
	v_add_f32_e32 v58, v81, v58
	;; [unrolled: 1-line block ×3, first 2 shown]
	v_sub_f32_e32 v81, v86, v76
	v_add_f32_e32 v80, v72, v82
	v_add_f32_e32 v121, v90, v67
	;; [unrolled: 1-line block ×6, first 2 shown]
	v_sub_f32_e32 v119, v66, v89
	v_add_f32_e32 v58, v85, v58
	v_add_f32_e32 v59, v84, v59
	v_sub_f32_e32 v84, v87, v77
	v_sub_f32_e32 v67, v67, v90
	v_add_f32_e32 v116, v79, v85
	v_add_f32_e32 v87, v87, v58
	;; [unrolled: 1-line block ×3, first 2 shown]
	v_mul_f32_e32 v59, 0xbf7ba420, v121
	v_mul_f32_e32 v58, 0xbf59a7d5, v121
	;; [unrolled: 1-line block ×3, first 2 shown]
	v_add_f32_e32 v122, v69, v87
	v_add_f32_e32 v123, v68, v120
	v_mul_f32_e32 v120, 0xbf1a4643, v121
	v_mul_f32_e32 v87, 0xbe8c1d8e, v121
	v_sub_f32_e32 v85, v85, v79
	v_add_f32_e32 v124, v71, v122
	v_add_f32_e32 v125, v70, v123
	v_mul_f32_e32 v123, 0x3ee437d1, v121
	v_mul_f32_e32 v122, 0x3f3d2fb0, v121
	;; [unrolled: 1-line block ×3, first 2 shown]
	v_add_f32_e32 v77, v77, v124
	v_add_f32_e32 v76, v76, v125
	v_fmamk_f32 v124, v119, 0x3e3c28d5, v59
	v_fmamk_f32 v125, v119, 0x3f06c442, v58
	;; [unrolled: 1-line block ×3, first 2 shown]
	v_add_f32_e32 v77, v79, v77
	v_add_f32_e32 v76, v78, v76
	v_fmamk_f32 v78, v119, 0x3f763a35, v87
	v_fmac_f32_e32 v59, 0xbe3c28d5, v119
	v_fmac_f32_e32 v58, 0xbf06c442, v119
	v_add_f32_e32 v73, v73, v77
	v_add_f32_e32 v72, v72, v76
	v_fmac_f32_e32 v120, 0xbf4c4adb, v119
	v_fmac_f32_e32 v87, 0xbf763a35, v119
	v_fmamk_f32 v76, v119, 0x3f7ee86f, v86
	v_add_f32_e32 v75, v75, v73
	v_add_f32_e32 v74, v74, v72
	v_fmac_f32_e32 v86, 0xbf7ee86f, v119
	v_fmamk_f32 v72, v119, 0x3f65296c, v123
	v_fmac_f32_e32 v123, 0xbf65296c, v119
	v_fmamk_f32 v73, v119, 0x3f2c7751, v122
	;; [unrolled: 2-line block ×3, first 2 shown]
	v_fmac_f32_e32 v121, 0xbeb8f4ab, v119
	v_mul_f32_e32 v79, 0xbe3c28d5, v67
	v_mul_f32_e32 v119, 0xbf06c442, v67
	;; [unrolled: 1-line block ×8, first 2 shown]
	v_add_f32_e32 v66, v89, v66
	v_add_f32_e32 v143, v65, v59
	;; [unrolled: 1-line block ×5, first 2 shown]
	v_fmamk_f32 v132, v66, 0xbf7ba420, v79
	v_fma_f32 v79, 0xbf7ba420, v66, -v79
	v_fmamk_f32 v133, v66, 0xbf59a7d5, v119
	v_fma_f32 v119, 0xbf59a7d5, v66, -v119
	;; [unrolled: 2-line block ×8, first 2 shown]
	v_add_f32_e32 v132, v64, v132
	v_add_f32_e32 v133, v64, v133
	;; [unrolled: 1-line block ×17, first 2 shown]
	v_sub_f32_e32 v67, v62, v56
	v_add_f32_e32 v66, v56, v62
	v_add_f32_e32 v131, v92, v61
	v_add_f32_e32 v56, v92, v58
	v_add_f32_e32 v58, v91, v59
	v_add_f32_e32 v124, v65, v124
	v_add_f32_e32 v125, v65, v125
	v_add_f32_e32 v126, v65, v126
	v_add_f32_e32 v78, v65, v78
	v_add_f32_e32 v76, v65, v76
	v_add_f32_e32 v141, v65, v73
	v_add_f32_e32 v142, v65, v77
	v_add_f32_e32 v120, v65, v120
	v_add_f32_e32 v146, v65, v87
	v_add_f32_e32 v147, v65, v86
	v_add_f32_e32 v123, v65, v123
	v_add_f32_e32 v73, v65, v122
	v_add_f32_e32 v65, v65, v121
	v_add_f32_e32 v121, v57, v63
	v_sub_f32_e32 v122, v63, v57
	v_sub_f32_e32 v74, v60, v91
	v_add_f32_e32 v57, v90, v56
	v_add_f32_e32 v56, v89, v58
	v_mul_f32_e32 v89, 0x3f6eb680, v131
	v_mul_f32_e32 v90, 0xbf59a7d5, v121
	v_add_f32_e32 v75, v91, v60
	v_mul_f32_e32 v91, 0x3f3d2fb0, v114
	v_sub_f32_e32 v148, v61, v92
	v_fmamk_f32 v58, v74, 0xbeb8f4ab, v89
	v_fmamk_f32 v59, v67, 0x3f06c442, v90
	v_mul_f32_e32 v92, 0xbf1a4643, v113
	v_mul_f32_e32 v152, 0xbe8c1d8e, v117
	;; [unrolled: 1-line block ×3, first 2 shown]
	v_add_f32_e32 v58, v58, v124
	v_mul_f32_e32 v124, 0x3ee437d1, v116
	v_mul_f32_e32 v153, 0x3f2c7751, v115
	;; [unrolled: 1-line block ×4, first 2 shown]
	v_add_f32_e32 v58, v59, v58
	v_fmamk_f32 v59, v111, 0xbf2c7751, v91
	v_add_f32_e32 v149, v71, v69
	v_mul_f32_e32 v156, 0xbf763a35, v84
	v_sub_f32_e32 v62, v68, v70
	v_sub_f32_e32 v150, v69, v71
	v_add_f32_e32 v58, v59, v58
	v_fmamk_f32 v59, v110, 0x3f4c4adb, v92
	v_mul_f32_e32 v157, 0x3dbcf732, v149
	v_add_f32_e32 v63, v70, v68
	v_mul_f32_e32 v158, 0x3f7ee86f, v150
	v_mul_f32_e32 v159, 0x3ee437d1, v131
	v_add_f32_e32 v58, v59, v58
	v_fmamk_f32 v59, v109, 0xbf65296c, v124
	v_mul_f32_e32 v160, 0xbf1a4643, v114
	v_mul_f32_e32 v161, 0x3f6eb680, v113
	;; [unrolled: 1-line block ×4, first 2 shown]
	v_add_f32_e32 v58, v59, v58
	v_fmamk_f32 v59, v75, 0x3f6eb680, v151
	v_mul_f32_e32 v164, 0xbf7ee86f, v122
	v_mul_f32_e32 v165, 0x3f4c4adb, v115
	;; [unrolled: 1-line block ×4, first 2 shown]
	v_add_f32_e32 v59, v59, v132
	v_mul_f32_e32 v132, 0xbf06c442, v122
	v_mul_f32_e32 v168, 0x3f2c7751, v84
	;; [unrolled: 1-line block ×5, first 2 shown]
	v_fmamk_f32 v60, v66, 0xbf59a7d5, v132
	v_mul_f32_e32 v172, 0xbf59a7d5, v114
	v_mul_f32_e32 v173, 0x3dbcf732, v113
	v_mul_f32_e32 v174, 0x3f3d2fb0, v116
	v_mul_f32_e32 v175, 0x3f763a35, v148
	v_add_f32_e32 v59, v60, v59
	v_fmamk_f32 v60, v81, 0x3f763a35, v152
	v_mul_f32_e32 v176, 0xbeb8f4ab, v122
	v_mul_f32_e32 v177, 0xbf06c442, v115
	v_mul_f32_e32 v178, 0x3f7ee86f, v118
	v_mul_f32_e32 v179, 0xbf2c7751, v85
	v_add_f32_e32 v58, v60, v58
	;; [unrolled: 6-line block ×4, first 2 shown]
	v_fmamk_f32 v60, v83, 0x3ee437d1, v155
	v_fmamk_f32 v71, v67, 0xbf2c7751, v184
	v_mul_f32_e32 v188, 0x3f06c442, v148
	v_mul_f32_e32 v189, 0x3f2c7751, v122
	v_mul_f32_e32 v190, 0xbf65296c, v115
	v_add_f32_e32 v59, v60, v59
	v_fmamk_f32 v60, v82, 0xbe8c1d8e, v156
	v_mul_f32_e32 v191, 0xbe3c28d5, v118
	v_mul_f32_e32 v192, 0x3f7ee86f, v85
	v_mul_f32_e32 v193, 0xbeb8f4ab, v84
	v_mul_f32_e32 v194, 0xbf1a4643, v149
	v_add_f32_e32 v60, v60, v59
	v_fmamk_f32 v59, v62, 0xbf7ee86f, v157
	v_mul_f32_e32 v195, 0xbf4c4adb, v150
	;; [unrolled: 6-line block ×4, first 2 shown]
	v_mul_f32_e32 v204, 0xbf65296c, v118
	v_mul_f32_e32 v205, 0xbf06c442, v85
	v_mul_f32_e32 v206, 0x3f4c4adb, v84
	v_add_f32_e32 v60, v60, v125
	v_mul_f32_e32 v125, 0x3dbcf732, v121
	v_mul_f32_e32 v207, 0x3f3d2fb0, v149
	;; [unrolled: 1-line block ×5, first 2 shown]
	v_fmamk_f32 v61, v67, 0x3f7ee86f, v125
	v_mul_f32_e32 v211, 0x3f3d2fb0, v113
	v_mul_f32_e32 v212, 0x3f6eb680, v116
	v_mul_f32_e32 v213, 0xbf4c4adb, v148
	v_mul_f32_e32 v214, 0x3e3c28d5, v122
	v_add_f32_e32 v60, v61, v60
	v_fmamk_f32 v61, v111, 0xbf4c4adb, v160
	v_mul_f32_e32 v215, 0x3f763a35, v115
	v_mul_f32_e32 v216, 0x3f2c7751, v118
	v_mul_f32_e32 v217, 0xbeb8f4ab, v85
	v_mul_f32_e32 v218, 0xbf7ee86f, v84
	v_add_f32_e32 v60, v61, v60
	;; [unrolled: 6-line block ×5, first 2 shown]
	v_mul_f32_e32 v133, 0x3f3d2fb0, v117
	v_fmac_f32_e32 v89, 0x3eb8f4ab, v74
	v_fmac_f32_e32 v90, 0xbf06c442, v67
	;; [unrolled: 1-line block ×3, first 2 shown]
	v_mul_f32_e32 v235, 0xbf7ee86f, v115
	v_fmamk_f32 v68, v81, 0xbf2c7751, v133
	v_add_f32_e32 v89, v89, v143
	v_mul_f32_e32 v236, 0xbf763a35, v118
	v_mul_f32_e32 v237, 0xbf4c4adb, v85
	v_fmac_f32_e32 v92, 0xbf4c4adb, v110
	v_add_f32_e32 v60, v68, v60
	v_fmamk_f32 v68, v66, 0x3dbcf732, v164
	v_add_f32_e32 v89, v90, v89
	v_fma_f32 v90, 0x3f6eb680, v75, -v151
	v_mul_f32_e32 v238, 0xbf06c442, v84
	v_fmac_f32_e32 v124, 0x3f65296c, v109
	v_add_f32_e32 v61, v68, v61
	v_fmamk_f32 v68, v112, 0xbf1a4643, v165
	v_add_f32_e32 v90, v90, v144
	v_add_f32_e32 v89, v91, v89
	v_fma_f32 v91, 0xbf59a7d5, v66, -v132
	v_mul_f32_e32 v149, 0xbf7ba420, v149
	v_add_f32_e32 v61, v68, v61
	v_fmamk_f32 v68, v80, 0x3f6eb680, v166
	v_add_f32_e32 v89, v92, v89
	v_add_f32_e32 v90, v91, v90
	v_fma_f32 v91, 0x3f3d2fb0, v112, -v153
	v_fmac_f32_e32 v152, 0xbf763a35, v81
	v_add_f32_e32 v61, v68, v61
	v_fmamk_f32 v68, v83, 0xbf7ba420, v167
	v_add_f32_e32 v89, v124, v89
	v_add_f32_e32 v90, v91, v90
	v_fma_f32 v91, 0xbf1a4643, v80, -v154
	v_mul_f32_e32 v150, 0xbe3c28d5, v150
	v_add_f32_e32 v61, v68, v61
	v_fmamk_f32 v68, v82, 0x3f3d2fb0, v168
	v_add_f32_e32 v89, v152, v89
	v_add_f32_e32 v90, v91, v90
	v_fma_f32 v91, 0x3ee437d1, v83, -v155
	v_fmac_f32_e32 v157, 0x3f7ee86f, v62
	v_add_f32_e32 v68, v68, v61
	v_fmamk_f32 v61, v62, 0x3f763a35, v169
	v_fma_f32 v92, 0x3dbcf732, v63, -v158
	v_add_f32_e32 v90, v91, v90
	v_fma_f32 v91, 0xbe8c1d8e, v82, -v156
	v_fmac_f32_e32 v159, 0x3f65296c, v74
	v_add_f32_e32 v61, v61, v60
	v_fmamk_f32 v60, v63, 0xbe8c1d8e, v170
	v_fmac_f32_e32 v125, 0xbf7ee86f, v67
	v_add_f32_e32 v91, v91, v90
	v_add_f32_e32 v90, v157, v89
	v_fmac_f32_e32 v160, 0x3f4c4adb, v111
	v_add_f32_e32 v60, v60, v68
	v_fmamk_f32 v68, v74, 0xbf763a35, v171
	v_add_f32_e32 v89, v92, v91
	v_fma_f32 v92, 0x3ee437d1, v75, -v163
	v_add_f32_e32 v91, v159, v145
	v_fmac_f32_e32 v161, 0xbeb8f4ab, v110
	v_add_f32_e32 v68, v68, v126
	v_mul_f32_e32 v126, 0x3f6eb680, v121
	v_add_f32_e32 v92, v92, v119
	v_add_f32_e32 v91, v125, v91
	v_fmac_f32_e32 v162, 0xbe3c28d5, v109
	v_fmac_f32_e32 v133, 0x3f2c7751, v81
	v_fmamk_f32 v69, v67, 0x3eb8f4ab, v126
	v_fmac_f32_e32 v169, 0xbf763a35, v62
	v_add_f32_e32 v91, v160, v91
	v_fmac_f32_e32 v171, 0x3f763a35, v74
	v_fmac_f32_e32 v126, 0xbeb8f4ab, v67
	v_add_f32_e32 v68, v69, v68
	v_fmamk_f32 v69, v111, 0x3f06c442, v172
	v_add_f32_e32 v91, v161, v91
	v_fmac_f32_e32 v172, 0xbf06c442, v111
	v_fmac_f32_e32 v184, 0x3f2c7751, v67
	v_fma_f32 v119, 0xbe8c1d8e, v66, -v202
	v_add_f32_e32 v68, v69, v68
	v_fmamk_f32 v69, v110, 0xbf7ee86f, v173
	v_add_f32_e32 v91, v162, v91
	v_fmac_f32_e32 v173, 0x3f7ee86f, v110
	v_fma_f32 v124, 0xbf59a7d5, v63, -v220
	v_add_f32_e32 v68, v69, v68
	v_fmamk_f32 v69, v109, 0x3f2c7751, v174
	v_add_f32_e32 v91, v133, v91
	v_fmac_f32_e32 v174, 0xbf2c7751, v109
	v_add_f32_e32 v68, v69, v68
	v_fmamk_f32 v69, v75, 0xbe8c1d8e, v175
	v_add_f32_e32 v69, v69, v134
	v_mul_f32_e32 v134, 0xbf7ba420, v117
	v_fmamk_f32 v70, v81, 0x3e3c28d5, v134
	v_fmac_f32_e32 v134, 0xbe3c28d5, v81
	v_add_f32_e32 v68, v70, v68
	v_fmamk_f32 v70, v66, 0x3f6eb680, v176
	v_add_f32_e32 v69, v70, v69
	v_fmamk_f32 v70, v112, 0xbf59a7d5, v177
	;; [unrolled: 2-line block ×6, first 2 shown]
	v_fmac_f32_e32 v181, 0x3f65296c, v62
	v_add_f32_e32 v69, v69, v68
	v_fmamk_f32 v68, v63, 0x3ee437d1, v182
	v_add_f32_e32 v68, v68, v70
	v_fmamk_f32 v70, v74, 0xbf06c442, v183
	v_fmac_f32_e32 v183, 0x3f06c442, v74
	v_add_f32_e32 v70, v70, v78
	v_add_f32_e32 v70, v71, v70
	v_fmamk_f32 v71, v111, 0x3f65296c, v185
	v_fmac_f32_e32 v185, 0xbf65296c, v111
	v_add_f32_e32 v70, v71, v70
	v_fmamk_f32 v71, v110, 0x3e3c28d5, v186
	v_fmac_f32_e32 v186, 0xbe3c28d5, v110
	;; [unrolled: 3-line block ×3, first 2 shown]
	v_add_f32_e32 v70, v71, v70
	v_fmamk_f32 v71, v75, 0xbf59a7d5, v188
	v_add_f32_e32 v71, v71, v135
	v_mul_f32_e32 v135, 0x3f6eb680, v117
	v_fmamk_f32 v77, v81, 0x3eb8f4ab, v135
	v_fmac_f32_e32 v135, 0xbeb8f4ab, v81
	v_add_f32_e32 v70, v77, v70
	v_fmamk_f32 v77, v66, 0x3f3d2fb0, v189
	v_add_f32_e32 v71, v77, v71
	v_fmamk_f32 v77, v112, 0x3ee437d1, v190
	;; [unrolled: 2-line block ×6, first 2 shown]
	v_fmac_f32_e32 v194, 0xbf4c4adb, v62
	v_add_f32_e32 v71, v71, v70
	v_fmamk_f32 v70, v63, 0xbf1a4643, v195
	v_add_f32_e32 v70, v70, v77
	v_fmamk_f32 v77, v74, 0x3e3c28d5, v196
	v_fmac_f32_e32 v196, 0xbe3c28d5, v74
	v_add_f32_e32 v76, v77, v76
	v_fmamk_f32 v77, v67, 0xbf763a35, v197
	v_fmac_f32_e32 v197, 0x3f763a35, v67
	v_add_f32_e32 v76, v77, v76
	v_fmamk_f32 v77, v111, 0xbeb8f4ab, v198
	v_fmac_f32_e32 v198, 0x3eb8f4ab, v111
	v_add_f32_e32 v76, v77, v76
	v_fmamk_f32 v77, v110, 0x3f65296c, v199
	v_fmac_f32_e32 v199, 0xbf65296c, v110
	v_add_f32_e32 v76, v77, v76
	v_fmamk_f32 v77, v109, 0x3f06c442, v200
	v_fmac_f32_e32 v200, 0xbf06c442, v109
	v_add_f32_e32 v76, v77, v76
	v_fmamk_f32 v77, v75, 0xbf7ba420, v201
	v_add_f32_e32 v77, v77, v136
	v_mul_f32_e32 v136, 0xbf1a4643, v117
	v_fmamk_f32 v78, v81, 0xbf4c4adb, v136
	v_fmac_f32_e32 v136, 0x3f4c4adb, v81
	v_add_f32_e32 v76, v78, v76
	v_fmamk_f32 v78, v66, 0xbe8c1d8e, v202
	v_add_f32_e32 v77, v78, v77
	v_fmamk_f32 v78, v112, 0x3f6eb680, v203
	;; [unrolled: 2-line block ×6, first 2 shown]
	v_fmac_f32_e32 v207, 0x3f2c7751, v62
	v_add_f32_e32 v77, v77, v76
	v_fmamk_f32 v76, v63, 0x3f3d2fb0, v208
	v_add_f32_e32 v76, v76, v78
	v_fmamk_f32 v78, v74, 0x3f4c4adb, v209
	v_fmac_f32_e32 v209, 0xbf4c4adb, v74
	v_add_f32_e32 v78, v78, v140
	v_mul_f32_e32 v140, 0xbf7ba420, v121
	v_fmamk_f32 v79, v67, 0xbe3c28d5, v140
	v_fmac_f32_e32 v140, 0x3e3c28d5, v67
	v_add_f32_e32 v78, v79, v78
	v_fmamk_f32 v79, v111, 0xbf763a35, v210
	v_fmac_f32_e32 v210, 0x3f763a35, v111
	v_add_f32_e32 v78, v79, v78
	;; [unrolled: 3-line block ×4, first 2 shown]
	v_fmamk_f32 v79, v75, 0xbf1a4643, v213
	v_add_f32_e32 v79, v79, v137
	v_mul_f32_e32 v137, 0x3dbcf732, v117
	v_fmamk_f32 v86, v81, 0x3f7ee86f, v137
	v_fmac_f32_e32 v137, 0xbf7ee86f, v81
	v_add_f32_e32 v78, v86, v78
	v_fmamk_f32 v86, v66, 0xbf7ba420, v214
	v_add_f32_e32 v79, v86, v79
	v_fmamk_f32 v86, v112, 0xbe8c1d8e, v215
	;; [unrolled: 2-line block ×6, first 2 shown]
	v_fmac_f32_e32 v219, 0xbf06c442, v62
	v_add_f32_e32 v79, v79, v78
	v_fmamk_f32 v78, v63, 0xbf59a7d5, v220
	v_add_f32_e32 v78, v78, v86
	v_fmamk_f32 v86, v74, 0x3f7ee86f, v221
	v_fmac_f32_e32 v221, 0xbf7ee86f, v74
	v_add_f32_e32 v86, v86, v141
	v_mul_f32_e32 v141, 0xbf1a4643, v121
	v_mul_f32_e32 v121, 0x3ee437d1, v121
	v_add_f32_e32 v73, v221, v73
	v_fmamk_f32 v87, v67, 0x3f4c4adb, v141
	v_fmac_f32_e32 v141, 0xbf4c4adb, v67
	v_add_f32_e32 v86, v87, v86
	v_fmamk_f32 v87, v111, 0x3e3c28d5, v222
	v_add_f32_e32 v73, v141, v73
	v_fmac_f32_e32 v222, 0xbe3c28d5, v111
	v_add_f32_e32 v86, v87, v86
	v_fmamk_f32 v87, v110, 0xbf06c442, v223
	v_add_f32_e32 v73, v222, v73
	;; [unrolled: 4-line block ×4, first 2 shown]
	v_add_f32_e32 v87, v87, v138
	v_mul_f32_e32 v138, 0x3ee437d1, v117
	v_fmamk_f32 v226, v81, 0xbf65296c, v138
	v_fmac_f32_e32 v138, 0x3f65296c, v81
	v_add_f32_e32 v86, v226, v86
	v_mul_f32_e32 v226, 0xbf4c4adb, v122
	v_mul_f32_e32 v122, 0xbf65296c, v122
	v_add_f32_e32 v73, v138, v73
	v_fmamk_f32 v227, v66, 0xbf1a4643, v226
	v_add_f32_e32 v87, v227, v87
	v_mul_f32_e32 v227, 0xbe3c28d5, v115
	v_fmamk_f32 v115, v112, 0x3dbcf732, v235
	v_fmamk_f32 v228, v112, 0xbf7ba420, v227
	v_add_f32_e32 v87, v228, v87
	v_mul_f32_e32 v228, 0x3f06c442, v118
	v_fma_f32 v118, 0xbf1a4643, v63, -v195
	v_fmamk_f32 v229, v80, 0xbf59a7d5, v228
	v_add_f32_e32 v87, v229, v87
	v_mul_f32_e32 v229, 0x3f763a35, v85
	v_fmamk_f32 v85, v83, 0xbf1a4643, v237
	v_fmamk_f32 v230, v83, 0xbe8c1d8e, v229
	v_add_f32_e32 v87, v230, v87
	v_mul_f32_e32 v230, 0x3f65296c, v84
	v_fmamk_f32 v84, v82, 0xbf59a7d5, v238
	v_fmamk_f32 v231, v82, 0x3ee437d1, v230
	v_add_f32_e32 v231, v231, v87
	v_fmamk_f32 v87, v62, 0xbeb8f4ab, v232
	v_fmac_f32_e32 v232, 0x3eb8f4ab, v62
	v_add_f32_e32 v87, v87, v86
	v_fmamk_f32 v86, v63, 0x3f6eb680, v233
	v_add_f32_e32 v86, v86, v231
	v_fmamk_f32 v231, v74, 0x3f2c7751, v131
	v_fmac_f32_e32 v131, 0xbf2c7751, v74
	v_fma_f32 v74, 0x3f3d2fb0, v75, -v148
	v_add_f32_e32 v142, v231, v142
	v_fmamk_f32 v231, v67, 0x3f65296c, v121
	v_add_f32_e32 v65, v131, v65
	v_fmac_f32_e32 v121, 0xbf65296c, v67
	v_add_f32_e32 v64, v74, v64
	v_fma_f32 v67, 0xbf59a7d5, v80, -v228
	v_add_f32_e32 v142, v231, v142
	v_mul_f32_e32 v231, 0x3dbcf732, v114
	v_add_f32_e32 v65, v121, v65
	v_fma_f32 v74, 0x3f6eb680, v63, -v233
	v_fmamk_f32 v114, v111, 0x3f7ee86f, v231
	v_fmac_f32_e32 v231, 0xbf7ee86f, v111
	v_add_f32_e32 v114, v114, v142
	v_mul_f32_e32 v142, 0xbe8c1d8e, v113
	v_add_f32_e32 v65, v231, v65
	v_fmamk_f32 v113, v110, 0x3f763a35, v142
	v_fmac_f32_e32 v142, 0xbf763a35, v110
	v_add_f32_e32 v113, v113, v114
	v_fmamk_f32 v114, v109, 0x3f4c4adb, v234
	v_add_f32_e32 v65, v142, v65
	v_fmac_f32_e32 v234, 0xbf4c4adb, v109
	v_add_f32_e32 v113, v114, v113
	v_fmamk_f32 v114, v75, 0x3f3d2fb0, v148
	v_add_f32_e32 v65, v234, v65
	v_add_f32_e32 v114, v114, v139
	v_mul_f32_e32 v139, 0xbf59a7d5, v117
	v_fma_f32 v117, 0x3f3d2fb0, v66, -v189
	v_fmamk_f32 v116, v81, 0x3f06c442, v139
	v_fmac_f32_e32 v139, 0xbf06c442, v81
	v_add_f32_e32 v113, v116, v113
	v_fmamk_f32 v116, v66, 0x3ee437d1, v122
	v_add_f32_e32 v65, v139, v65
	v_add_f32_e32 v114, v116, v114
	v_fma_f32 v116, 0x3ee437d1, v63, -v182
	v_add_f32_e32 v114, v115, v114
	v_fmamk_f32 v115, v80, 0xbe8c1d8e, v236
	v_add_f32_e32 v114, v115, v114
	v_fma_f32 v115, 0x3f6eb680, v66, -v176
	v_add_f32_e32 v85, v85, v114
	v_fma_f32 v114, 0xbe8c1d8e, v63, -v170
	v_add_f32_e32 v84, v84, v85
	v_fmamk_f32 v85, v62, 0x3e3c28d5, v149
	v_fmac_f32_e32 v149, 0xbe3c28d5, v62
	v_add_f32_e32 v85, v85, v113
	v_fmamk_f32 v113, v63, 0xbf7ba420, v150
	v_add_f32_e32 v65, v149, v65
	v_add_f32_e32 v84, v113, v84
	v_fma_f32 v113, 0x3dbcf732, v66, -v164
	v_add_f32_e32 v92, v113, v92
	v_fma_f32 v113, 0xbf1a4643, v112, -v165
	;; [unrolled: 2-line block ×5, first 2 shown]
	v_add_f32_e32 v113, v113, v92
	v_add_f32_e32 v92, v169, v91
	;; [unrolled: 1-line block ×3, first 2 shown]
	v_fma_f32 v114, 0xbe8c1d8e, v75, -v175
	v_add_f32_e32 v113, v171, v120
	v_fma_f32 v120, 0x3f3d2fb0, v63, -v208
	v_add_f32_e32 v114, v114, v127
	v_add_f32_e32 v113, v126, v113
	v_add_f32_e32 v114, v115, v114
	v_fma_f32 v115, 0xbf59a7d5, v112, -v177
	v_add_f32_e32 v113, v172, v113
	v_add_f32_e32 v114, v115, v114
	v_fma_f32 v115, 0x3dbcf732, v80, -v178
	v_add_f32_e32 v113, v173, v113
	v_add_f32_e32 v114, v115, v114
	v_fma_f32 v115, 0x3f3d2fb0, v83, -v179
	v_add_f32_e32 v113, v174, v113
	v_add_f32_e32 v114, v115, v114
	v_fma_f32 v115, 0xbf7ba420, v82, -v180
	v_add_f32_e32 v113, v134, v113
	v_add_f32_e32 v115, v115, v114
	v_add_f32_e32 v114, v181, v113
	v_add_f32_e32 v113, v116, v115
	v_fma_f32 v116, 0xbf59a7d5, v75, -v188
	v_add_f32_e32 v115, v183, v146
	v_add_f32_e32 v116, v116, v128
	v_add_f32_e32 v115, v184, v115
	v_add_f32_e32 v116, v117, v116
	v_fma_f32 v117, 0x3ee437d1, v112, -v190
	v_add_f32_e32 v115, v185, v115
	v_add_f32_e32 v116, v117, v116
	v_fma_f32 v117, 0xbf7ba420, v80, -v191
	v_add_f32_e32 v115, v186, v115
	v_add_f32_e32 v116, v117, v116
	v_fma_f32 v117, 0x3dbcf732, v83, -v192
	v_add_f32_e32 v115, v187, v115
	v_add_f32_e32 v116, v117, v116
	v_fma_f32 v117, 0x3f6eb680, v82, -v193
	v_add_f32_e32 v115, v135, v115
	v_add_f32_e32 v117, v117, v116
	v_add_f32_e32 v116, v194, v115
	v_add_f32_e32 v115, v118, v117
	v_fma_f32 v118, 0xbf7ba420, v75, -v201
	v_add_f32_e32 v117, v196, v147
	;; [unrolled: 19-line block ×3, first 2 shown]
	v_fma_f32 v123, 0xbf7ba420, v66, -v214
	v_add_f32_e32 v120, v120, v130
	v_add_f32_e32 v119, v140, v119
	;; [unrolled: 1-line block ×3, first 2 shown]
	v_fma_f32 v123, 0xbe8c1d8e, v112, -v215
	v_add_f32_e32 v119, v210, v119
	v_add_f32_e32 v120, v123, v120
	v_fma_f32 v123, 0x3f3d2fb0, v80, -v216
	v_add_f32_e32 v119, v211, v119
	v_add_f32_e32 v120, v123, v120
	;; [unrolled: 3-line block ×4, first 2 shown]
	v_add_f32_e32 v120, v219, v119
	v_add_f32_e32 v119, v124, v123
	v_fma_f32 v123, 0x3dbcf732, v75, -v225
	v_fma_f32 v75, 0xbf7ba420, v112, -v227
	v_add_f32_e32 v72, v123, v72
	v_fma_f32 v123, 0xbf1a4643, v66, -v226
	v_fma_f32 v66, 0x3ee437d1, v66, -v122
	v_add_f32_e32 v72, v123, v72
	v_add_f32_e32 v64, v66, v64
	v_fma_f32 v66, 0xbe8c1d8e, v83, -v229
	v_add_f32_e32 v72, v75, v72
	v_add_f32_e32 v67, v67, v72
	;; [unrolled: 3-line block ×3, first 2 shown]
	v_fma_f32 v67, 0xbe8c1d8e, v80, -v236
	v_fma_f32 v72, 0x3ee437d1, v82, -v230
	v_add_f32_e32 v64, v67, v64
	v_fma_f32 v67, 0xbf1a4643, v83, -v237
	v_add_f32_e32 v66, v72, v66
	v_mul_lo_u16 v72, v95, 17
	v_add_f32_e32 v64, v67, v64
	v_fma_f32 v67, 0xbf59a7d5, v82, -v238
	v_and_b32_e32 v72, 0xffff, v72
	v_add_f32_e32 v62, v74, v66
	v_add_f32_e32 v64, v67, v64
	v_fma_f32 v67, 0xbf7ba420, v63, -v150
	v_lshl_add_u32 v72, v72, 3, v96
	v_add_f32_e32 v63, v232, v73
	v_add_f32_e32 v64, v67, v64
	ds_write2_b64 v72, v[56:57], v[84:85] offset1:1
	ds_write2_b64 v72, v[86:87], v[78:79] offset0:2 offset1:3
	ds_write2_b64 v72, v[76:77], v[70:71] offset0:4 offset1:5
	ds_write2_b64 v72, v[68:69], v[60:61] offset0:6 offset1:7
	ds_write2_b64 v72, v[58:59], v[89:90] offset0:8 offset1:9
	ds_write2_b64 v72, v[91:92], v[113:114] offset0:10 offset1:11
	ds_write2_b64 v72, v[115:116], v[117:118] offset0:12 offset1:13
	ds_write2_b64 v72, v[119:120], v[62:63] offset0:14 offset1:15
	ds_write_b64 v72, v[64:65] offset:128
.LBB0_13:
	s_or_b32 exec_lo, exec_lo, s0
	s_waitcnt lgkmcnt(0)
	s_barrier
	buffer_gl0_inv
	ds_read2_b64 v[59:62], v97 offset0:204 offset1:255
	v_add_nc_u32_e32 v57, 0xc00, v97
	v_add_nc_u32_e32 v56, 0x800, v97
	ds_read2_b64 v[63:66], v57 offset0:126 offset1:177
	ds_read2_b64 v[67:70], v56 offset0:50 offset1:101
	v_add_nc_u32_e32 v58, 0x1000, v97
	ds_read2_b64 v[71:74], v97 offset1:51
	ds_read2_b64 v[75:78], v58 offset0:100 offset1:151
	ds_read2_b64 v[79:82], v97 offset0:102 offset1:153
	ds_read_b64 v[89:90], v97 offset:5712
	ds_read2_b64 v[83:86], v56 offset0:152 offset1:203
	s_waitcnt lgkmcnt(0)
	s_barrier
	buffer_gl0_inv
	v_mul_f32_e32 v87, v17, v62
	v_mul_f32_e32 v17, v17, v61
	v_fmac_f32_e32 v87, v16, v61
	v_fma_f32 v16, v16, v62, -v17
	v_mul_f32_e32 v17, v19, v64
	v_mul_f32_e32 v19, v19, v63
	;; [unrolled: 1-line block ×8, first 2 shown]
	v_fmac_f32_e32 v17, v18, v63
	v_fma_f32 v18, v18, v64, -v19
	v_fmac_f32_e32 v61, v12, v67
	v_fma_f32 v12, v12, v68, -v13
	v_fma_f32 v13, v14, v66, -v15
	v_mul_f32_e32 v66, v1, v86
	v_mul_f32_e32 v1, v1, v85
	;; [unrolled: 1-line block ×4, first 2 shown]
	v_fmac_f32_e32 v91, v8, v69
	v_fma_f32 v15, v8, v70, -v9
	v_mul_f32_e32 v19, v5, v84
	v_mul_f32_e32 v5, v5, v83
	;; [unrolled: 1-line block ×4, first 2 shown]
	v_fmac_f32_e32 v66, v0, v85
	v_fma_f32 v69, v0, v86, -v1
	v_add_f32_e32 v0, v87, v17
	v_add_f32_e32 v1, v71, v87
	v_fma_f32 v70, v2, v90, -v3
	v_add_f32_e32 v3, v16, v18
	v_fmac_f32_e32 v62, v14, v65
	v_fma_f32 v65, v4, v84, -v5
	v_fmac_f32_e32 v64, v6, v77
	v_fma_f32 v67, v6, v78, -v7
	v_fmac_f32_e32 v68, v2, v89
	v_fma_f32 v0, -0.5, v0, v71
	v_sub_f32_e32 v5, v16, v18
	v_add_f32_e32 v2, v1, v17
	v_add_f32_e32 v6, v72, v16
	v_fma_f32 v1, -0.5, v3, v72
	v_sub_f32_e32 v7, v87, v17
	v_mul_f32_e32 v14, v11, v76
	v_mul_f32_e32 v11, v11, v75
	v_fmac_f32_e32 v19, v4, v83
	v_fmamk_f32 v4, v5, 0xbf5db3d7, v0
	v_fmac_f32_e32 v0, 0x3f5db3d7, v5
	v_add_f32_e32 v3, v6, v18
	v_add_f32_e32 v6, v61, v62
	v_fmamk_f32 v5, v7, 0x3f5db3d7, v1
	v_fmac_f32_e32 v1, 0xbf5db3d7, v7
	v_add_f32_e32 v7, v12, v13
	v_fmac_f32_e32 v14, v10, v75
	v_fma_f32 v63, v10, v76, -v11
	v_add_f32_e32 v8, v73, v61
	v_fma_f32 v73, -0.5, v6, v73
	v_sub_f32_e32 v9, v12, v13
	v_add_f32_e32 v10, v74, v12
	v_fmac_f32_e32 v74, -0.5, v7
	v_sub_f32_e32 v11, v61, v62
	v_add_f32_e32 v6, v8, v62
	v_fmamk_f32 v8, v9, 0xbf5db3d7, v73
	v_fmac_f32_e32 v73, 0x3f5db3d7, v9
	v_add_f32_e32 v7, v10, v13
	v_add_f32_e32 v10, v91, v14
	v_fmamk_f32 v9, v11, 0x3f5db3d7, v74
	v_fmac_f32_e32 v74, 0xbf5db3d7, v11
	v_add_f32_e32 v11, v15, v63
	v_add_f32_e32 v17, v19, v64
	;; [unrolled: 1-line block ×4, first 2 shown]
	v_fma_f32 v10, -0.5, v10, v79
	v_sub_f32_e32 v13, v15, v63
	v_add_f32_e32 v15, v80, v15
	v_fma_f32 v11, -0.5, v11, v80
	v_sub_f32_e32 v16, v91, v14
	v_add_f32_e32 v18, v81, v19
	;; [unrolled: 3-line block ×3, first 2 shown]
	v_fmac_f32_e32 v82, -0.5, v61
	v_sub_f32_e32 v61, v19, v64
	v_add_f32_e32 v12, v12, v14
	v_fmamk_f32 v14, v13, 0xbf5db3d7, v10
	v_fmac_f32_e32 v10, 0x3f5db3d7, v13
	v_add_f32_e32 v13, v15, v63
	v_fmamk_f32 v15, v16, 0x3f5db3d7, v11
	v_fmac_f32_e32 v11, 0xbf5db3d7, v16
	v_add_f32_e32 v16, v18, v64
	v_fmamk_f32 v18, v17, 0xbf5db3d7, v81
	v_fmac_f32_e32 v81, 0x3f5db3d7, v17
	v_add_f32_e32 v17, v62, v67
	v_add_f32_e32 v62, v66, v68
	v_fmamk_f32 v19, v61, 0x3f5db3d7, v82
	v_fmac_f32_e32 v82, 0xbf5db3d7, v61
	v_add_f32_e32 v61, v69, v70
	v_add_f32_e32 v63, v59, v66
	v_fma_f32 v59, -0.5, v62, v59
	v_sub_f32_e32 v62, v69, v70
	v_add_f32_e32 v64, v60, v69
	v_fmac_f32_e32 v60, -0.5, v61
	v_sub_f32_e32 v65, v66, v68
	v_add_f32_e32 v61, v63, v68
	v_fmamk_f32 v63, v62, 0xbf5db3d7, v59
	v_fmac_f32_e32 v59, 0x3f5db3d7, v62
	v_add_f32_e32 v62, v64, v70
	v_fmamk_f32 v64, v65, 0x3f5db3d7, v60
	v_fmac_f32_e32 v60, 0xbf5db3d7, v65
	ds_write2_b64 v103, v[2:3], v[4:5] offset1:17
	ds_write_b64 v103, v[0:1] offset:272
	ds_write2_b64 v102, v[6:7], v[8:9] offset1:17
	ds_write_b64 v102, v[73:74] offset:272
	;; [unrolled: 2-line block ×5, first 2 shown]
	s_waitcnt lgkmcnt(0)
	s_barrier
	buffer_gl0_inv
	ds_read2_b64 v[0:3], v97 offset0:102 offset1:153
	ds_read2_b64 v[4:7], v56 offset0:50 offset1:101
	;; [unrolled: 1-line block ×5, first 2 shown]
	ds_read2_b64 v[59:62], v97 offset1:51
	ds_read2_b64 v[63:66], v57 offset0:126 offset1:177
	ds_read_b64 v[67:68], v97 offset:5712
	s_waitcnt lgkmcnt(0)
	s_barrier
	buffer_gl0_inv
	v_mul_f32_e32 v69, v33, v3
	v_mul_f32_e32 v70, v33, v2
	;; [unrolled: 1-line block ×5, first 2 shown]
	v_fmac_f32_e32 v69, v32, v2
	v_fma_f32 v70, v32, v3, -v70
	v_fmac_f32_e32 v71, v34, v4
	v_fma_f32 v72, v34, v5, -v72
	v_mul_f32_e32 v2, v25, v10
	v_mul_f32_e32 v5, v27, v13
	;; [unrolled: 1-line block ×5, first 2 shown]
	v_fma_f32 v33, v24, v11, -v2
	v_fmac_f32_e32 v5, v26, v12
	v_fma_f32 v12, v26, v13, -v3
	v_fmac_f32_e32 v74, v32, v16
	v_fma_f32 v32, v32, v17, -v4
	v_mul_f32_e32 v17, v35, v7
	v_mul_f32_e32 v2, v35, v6
	;; [unrolled: 1-line block ×4, first 2 shown]
	v_fmac_f32_e32 v73, v24, v10
	v_mul_f32_e32 v25, v27, v15
	v_fmac_f32_e32 v17, v34, v6
	v_fma_f32 v34, v34, v7, -v2
	v_fmac_f32_e32 v35, v24, v63
	v_fma_f32 v24, v24, v64, -v3
	v_mul_f32_e32 v2, v27, v14
	v_mul_f32_e32 v27, v29, v19
	;; [unrolled: 1-line block ×5, first 2 shown]
	v_fmac_f32_e32 v25, v26, v14
	v_fmac_f32_e32 v27, v28, v18
	v_fma_f32 v28, v28, v19, -v3
	v_fmac_f32_e32 v29, v30, v8
	v_fma_f32 v30, v30, v9, -v4
	v_mul_f32_e32 v3, v21, v65
	v_add_f32_e32 v4, v59, v69
	v_fma_f32 v26, v26, v15, -v2
	v_add_f32_e32 v2, v71, v73
	v_sub_f32_e32 v6, v69, v71
	v_fma_f32 v64, v20, v66, -v3
	v_add_f32_e32 v3, v4, v71
	v_sub_f32_e32 v8, v5, v73
	v_add_f32_e32 v10, v69, v5
	v_fma_f32 v2, -0.5, v2, v59
	v_sub_f32_e32 v7, v70, v12
	v_sub_f32_e32 v9, v72, v33
	v_mul_f32_e32 v11, v23, v67
	v_add_f32_e32 v3, v3, v73
	v_add_f32_e32 v13, v6, v8
	v_fma_f32 v6, -0.5, v10, v59
	v_fmamk_f32 v4, v7, 0xbf737871, v2
	v_fma_f32 v59, v22, v68, -v11
	v_add_f32_e32 v8, v3, v5
	v_fmac_f32_e32 v2, 0x3f737871, v7
	v_fmamk_f32 v10, v9, 0x3f737871, v6
	v_sub_f32_e32 v3, v71, v69
	v_sub_f32_e32 v11, v73, v5
	v_add_f32_e32 v14, v60, v70
	v_add_f32_e32 v15, v72, v33
	v_fmac_f32_e32 v6, 0xbf737871, v9
	v_fmac_f32_e32 v4, 0xbf167918, v9
	;; [unrolled: 1-line block ×4, first 2 shown]
	v_add_f32_e32 v11, v3, v11
	v_add_f32_e32 v9, v14, v72
	v_fma_f32 v3, -0.5, v15, v60
	v_sub_f32_e32 v15, v69, v5
	v_fmac_f32_e32 v6, 0x3f167918, v7
	v_add_f32_e32 v7, v70, v12
	v_mul_f32_e32 v63, v23, v68
	v_fmac_f32_e32 v4, 0x3e9e377a, v13
	v_fmac_f32_e32 v2, 0x3e9e377a, v13
	v_add_f32_e32 v9, v9, v33
	v_fmamk_f32 v5, v15, 0x3f737871, v3
	v_sub_f32_e32 v13, v71, v73
	v_sub_f32_e32 v14, v70, v72
	;; [unrolled: 1-line block ×3, first 2 shown]
	v_fma_f32 v7, -0.5, v7, v60
	v_fmac_f32_e32 v3, 0xbf737871, v15
	v_add_f32_e32 v19, v61, v74
	v_mul_f32_e32 v31, v21, v66
	v_fmac_f32_e32 v63, v22, v67
	v_fmac_f32_e32 v10, 0x3e9e377a, v11
	;; [unrolled: 1-line block ×3, first 2 shown]
	v_add_f32_e32 v9, v9, v12
	v_fmac_f32_e32 v5, 0x3f167918, v13
	v_add_f32_e32 v14, v14, v16
	v_fmamk_f32 v11, v13, 0xbf737871, v7
	v_sub_f32_e32 v16, v72, v70
	v_sub_f32_e32 v12, v33, v12
	v_add_f32_e32 v18, v17, v35
	v_fmac_f32_e32 v3, 0xbf167918, v13
	v_fmac_f32_e32 v7, 0x3f737871, v13
	v_add_f32_e32 v13, v19, v17
	v_add_f32_e32 v22, v74, v25
	v_fmac_f32_e32 v31, v20, v65
	v_fmac_f32_e32 v11, 0x3f167918, v15
	v_add_f32_e32 v16, v16, v12
	v_fma_f32 v12, -0.5, v18, v61
	v_sub_f32_e32 v20, v32, v26
	v_sub_f32_e32 v19, v34, v24
	;; [unrolled: 1-line block ×4, first 2 shown]
	v_fmac_f32_e32 v7, 0xbf167918, v15
	v_add_f32_e32 v13, v13, v35
	v_fma_f32 v61, -0.5, v22, v61
	v_fmac_f32_e32 v5, 0x3e9e377a, v14
	v_fmac_f32_e32 v3, 0x3e9e377a, v14
	;; [unrolled: 1-line block ×3, first 2 shown]
	v_fmamk_f32 v14, v20, 0xbf737871, v12
	v_add_f32_e32 v15, v18, v21
	v_fmac_f32_e32 v7, 0x3e9e377a, v16
	v_add_f32_e32 v16, v13, v25
	v_fmac_f32_e32 v12, 0x3f737871, v20
	v_fmamk_f32 v18, v19, 0x3f737871, v61
	v_sub_f32_e32 v13, v17, v74
	v_sub_f32_e32 v21, v35, v25
	v_add_f32_e32 v22, v62, v32
	v_add_f32_e32 v23, v34, v24
	v_fmac_f32_e32 v61, 0xbf737871, v19
	v_fmac_f32_e32 v14, 0xbf167918, v19
	v_fmac_f32_e32 v12, 0x3f167918, v19
	v_fmac_f32_e32 v18, 0xbf167918, v20
	v_add_f32_e32 v21, v13, v21
	v_add_f32_e32 v19, v22, v34
	v_fma_f32 v13, -0.5, v23, v62
	v_sub_f32_e32 v22, v74, v25
	v_fmac_f32_e32 v61, 0x3f167918, v20
	v_add_f32_e32 v20, v32, v26
	v_sub_f32_e32 v25, v32, v34
	v_sub_f32_e32 v33, v26, v24
	v_fmac_f32_e32 v14, 0x3e9e377a, v15
	v_fmac_f32_e32 v12, 0x3e9e377a, v15
	v_add_f32_e32 v19, v19, v24
	v_fmamk_f32 v15, v22, 0x3f737871, v13
	v_sub_f32_e32 v23, v17, v35
	v_fmac_f32_e32 v62, -0.5, v20
	v_fmac_f32_e32 v13, 0xbf737871, v22
	v_fmac_f32_e32 v18, 0x3e9e377a, v21
	;; [unrolled: 1-line block ×3, first 2 shown]
	v_add_f32_e32 v21, v25, v33
	v_sub_f32_e32 v20, v34, v32
	v_sub_f32_e32 v24, v24, v26
	v_add_f32_e32 v25, v29, v31
	v_add_f32_e32 v17, v19, v26
	v_fmac_f32_e32 v15, 0x3f167918, v23
	v_fmamk_f32 v19, v23, 0xbf737871, v62
	v_fmac_f32_e32 v13, 0xbf167918, v23
	v_fmac_f32_e32 v62, 0x3f737871, v23
	v_add_f32_e32 v23, v0, v27
	v_add_f32_e32 v24, v20, v24
	v_fma_f32 v20, -0.5, v25, v0
	v_sub_f32_e32 v25, v28, v59
	v_fmac_f32_e32 v15, 0x3e9e377a, v21
	v_fmac_f32_e32 v13, 0x3e9e377a, v21
	v_add_f32_e32 v21, v23, v29
	v_fmac_f32_e32 v19, 0x3f167918, v22
	v_fmac_f32_e32 v62, 0xbf167918, v22
	v_fmamk_f32 v22, v25, 0xbf737871, v20
	v_sub_f32_e32 v23, v30, v64
	v_sub_f32_e32 v26, v27, v29
	;; [unrolled: 1-line block ×3, first 2 shown]
	v_fmac_f32_e32 v20, 0x3f737871, v25
	v_add_f32_e32 v33, v27, v63
	v_add_f32_e32 v21, v21, v31
	v_fmac_f32_e32 v22, 0xbf167918, v23
	v_add_f32_e32 v26, v26, v32
	v_fmac_f32_e32 v20, 0x3f167918, v23
	v_fma_f32 v0, -0.5, v33, v0
	v_sub_f32_e32 v32, v29, v27
	v_sub_f32_e32 v33, v31, v63
	v_fmac_f32_e32 v19, 0x3e9e377a, v24
	v_fmac_f32_e32 v62, 0x3e9e377a, v24
	v_add_f32_e32 v24, v21, v63
	v_add_f32_e32 v21, v30, v64
	v_fmac_f32_e32 v22, 0x3e9e377a, v26
	v_fmac_f32_e32 v20, 0x3e9e377a, v26
	v_fmamk_f32 v26, v23, 0x3f737871, v0
	v_fmac_f32_e32 v0, 0xbf737871, v23
	v_sub_f32_e32 v34, v27, v63
	v_add_f32_e32 v27, v32, v33
	v_add_f32_e32 v32, v28, v59
	;; [unrolled: 1-line block ×3, first 2 shown]
	v_fma_f32 v21, -0.5, v21, v1
	v_fmac_f32_e32 v26, 0xbf167918, v25
	v_fmac_f32_e32 v0, 0x3f167918, v25
	v_sub_f32_e32 v29, v29, v31
	v_fmac_f32_e32 v1, -0.5, v32
	v_add_f32_e32 v25, v23, v30
	v_fmamk_f32 v23, v34, 0x3f737871, v21
	v_sub_f32_e32 v31, v28, v30
	v_sub_f32_e32 v32, v59, v64
	v_fmac_f32_e32 v26, 0x3e9e377a, v27
	v_fmac_f32_e32 v0, 0x3e9e377a, v27
	;; [unrolled: 1-line block ×3, first 2 shown]
	v_fmamk_f32 v27, v29, 0xbf737871, v1
	v_sub_f32_e32 v28, v30, v28
	v_sub_f32_e32 v30, v64, v59
	v_fmac_f32_e32 v1, 0x3f737871, v29
	v_add_f32_e32 v25, v25, v64
	v_fmac_f32_e32 v23, 0x3f167918, v29
	v_add_f32_e32 v31, v31, v32
	v_fmac_f32_e32 v21, 0xbf167918, v29
	v_fmac_f32_e32 v27, 0x3f167918, v34
	v_add_f32_e32 v28, v28, v30
	v_fmac_f32_e32 v1, 0xbf167918, v34
	v_add_f32_e32 v25, v25, v59
	v_fmac_f32_e32 v23, 0x3e9e377a, v31
	ds_write2_b64 v97, v[8:9], v[4:5] offset1:51
	ds_write2_b64 v97, v[10:11], v[6:7] offset0:102 offset1:153
	v_add_nc_u32_e32 v4, 0xc00, v98
	v_fmac_f32_e32 v21, 0x3e9e377a, v31
	v_fmac_f32_e32 v27, 0x3e9e377a, v28
	v_fmac_f32_e32 v1, 0x3e9e377a, v28
	v_add_nc_u32_e32 v5, 0x1000, v98
	ds_write2_b64 v97, v[2:3], v[16:17] offset0:204 offset1:255
	ds_write2_b64 v56, v[14:15], v[18:19] offset0:50 offset1:101
	;; [unrolled: 1-line block ×5, first 2 shown]
	ds_write_b64 v98, v[20:21] offset:5712
	s_waitcnt lgkmcnt(0)
	s_barrier
	buffer_gl0_inv
	ds_read2_b64 v[0:3], v97 offset0:204 offset1:255
	ds_read2_b64 v[4:7], v57 offset0:126 offset1:177
	;; [unrolled: 1-line block ×3, first 2 shown]
	ds_read2_b64 v[12:15], v97 offset1:51
	ds_read2_b64 v[16:19], v97 offset0:102 offset1:153
	ds_read2_b64 v[20:23], v58 offset0:100 offset1:151
	;; [unrolled: 1-line block ×3, first 2 shown]
	ds_read_b64 v[28:29], v97 offset:5712
	s_waitcnt lgkmcnt(7)
	v_mul_f32_e32 v30, v53, v3
	s_waitcnt lgkmcnt(6)
	v_mul_f32_e32 v32, v55, v5
	v_mul_f32_e32 v31, v53, v2
	s_waitcnt lgkmcnt(5)
	v_mul_f32_e32 v34, v45, v11
	v_mul_f32_e32 v33, v51, v7
	v_fmac_f32_e32 v30, v52, v2
	v_mul_f32_e32 v2, v55, v4
	v_fmac_f32_e32 v32, v54, v4
	v_mul_f32_e32 v4, v49, v8
	v_fma_f32 v3, v52, v3, -v31
	v_mul_f32_e32 v31, v49, v9
	v_fma_f32 v5, v54, v5, -v2
	;; [unrolled: 2-line block ×3, first 2 shown]
	v_mul_f32_e32 v4, v45, v10
	s_waitcnt lgkmcnt(2)
	v_mul_f32_e32 v45, v47, v21
	v_fmac_f32_e32 v34, v44, v10
	v_fma_f32 v35, v50, v7, -v2
	v_mul_f32_e32 v2, v47, v20
	v_fma_f32 v44, v44, v11, -v4
	s_waitcnt lgkmcnt(1)
	v_mul_f32_e32 v47, v41, v25
	v_mul_f32_e32 v4, v41, v24
	;; [unrolled: 1-line block ×3, first 2 shown]
	v_fma_f32 v21, v46, v21, -v2
	v_mul_f32_e32 v2, v43, v22
	v_fmac_f32_e32 v47, v40, v24
	v_fma_f32 v24, v40, v25, -v4
	v_mul_f32_e32 v4, v37, v26
	v_mul_f32_e32 v40, v37, v27
	v_fma_f32 v23, v42, v23, -v2
	s_waitcnt lgkmcnt(0)
	v_mul_f32_e32 v2, v39, v28
	v_fmac_f32_e32 v31, v48, v8
	v_fma_f32 v27, v36, v27, -v4
	v_add_f32_e32 v4, v30, v32
	v_fmac_f32_e32 v33, v50, v6
	v_mul_f32_e32 v37, v39, v29
	v_add_f32_e32 v6, v12, v30
	v_fma_f32 v29, v38, v29, -v2
	v_fma_f32 v2, -0.5, v4, v12
	v_sub_f32_e32 v8, v3, v5
	v_add_f32_e32 v7, v3, v5
	v_add_f32_e32 v4, v6, v32
	;; [unrolled: 1-line block ×3, first 2 shown]
	v_fmac_f32_e32 v45, v46, v20
	v_fmamk_f32 v6, v8, 0xbf5db3d7, v2
	v_fmac_f32_e32 v2, 0x3f5db3d7, v8
	v_add_f32_e32 v8, v31, v33
	v_fma_f32 v3, -0.5, v7, v13
	v_sub_f32_e32 v11, v30, v32
	v_add_f32_e32 v5, v10, v5
	v_add_f32_e32 v10, v14, v31
	v_fma_f32 v14, -0.5, v8, v14
	v_sub_f32_e32 v12, v9, v35
	v_fmamk_f32 v7, v11, 0x3f5db3d7, v3
	v_fmac_f32_e32 v3, 0xbf5db3d7, v11
	v_add_f32_e32 v11, v9, v35
	v_add_f32_e32 v8, v10, v33
	v_fmamk_f32 v10, v12, 0xbf5db3d7, v14
	v_fmac_f32_e32 v14, 0x3f5db3d7, v12
	v_add_f32_e32 v12, v34, v45
	v_fmac_f32_e32 v41, v42, v22
	v_add_f32_e32 v9, v15, v9
	v_fmac_f32_e32 v15, -0.5, v11
	v_sub_f32_e32 v13, v31, v33
	v_add_f32_e32 v20, v16, v34
	v_fma_f32 v12, -0.5, v12, v16
	v_sub_f32_e32 v22, v44, v21
	v_add_f32_e32 v25, v17, v44
	v_fmamk_f32 v11, v13, 0x3f5db3d7, v15
	v_fmac_f32_e32 v15, 0xbf5db3d7, v13
	v_add_f32_e32 v13, v44, v21
	v_add_f32_e32 v16, v20, v45
	v_fmamk_f32 v20, v22, 0xbf5db3d7, v12
	v_fmac_f32_e32 v12, 0x3f5db3d7, v22
	v_add_f32_e32 v22, v47, v41
	v_fmac_f32_e32 v40, v36, v26
	v_fmac_f32_e32 v37, v38, v28
	v_fma_f32 v13, -0.5, v13, v17
	v_sub_f32_e32 v26, v34, v45
	v_add_f32_e32 v17, v25, v21
	v_add_f32_e32 v25, v18, v47
	v_fma_f32 v18, -0.5, v22, v18
	v_sub_f32_e32 v28, v24, v23
	v_fmamk_f32 v21, v26, 0x3f5db3d7, v13
	v_fmac_f32_e32 v13, 0xbf5db3d7, v26
	v_add_f32_e32 v26, v24, v23
	v_add_f32_e32 v22, v25, v41
	;; [unrolled: 1-line block ×3, first 2 shown]
	v_fmamk_f32 v24, v28, 0xbf5db3d7, v18
	v_fmac_f32_e32 v18, 0x3f5db3d7, v28
	v_add_f32_e32 v28, v40, v37
	v_add_f32_e32 v31, v27, v29
	;; [unrolled: 1-line block ×3, first 2 shown]
	v_sub_f32_e32 v32, v27, v29
	v_fmac_f32_e32 v19, -0.5, v26
	v_fma_f32 v0, -0.5, v28, v0
	v_sub_f32_e32 v26, v47, v41
	v_add_f32_e32 v9, v9, v35
	v_add_f32_e32 v27, v1, v27
	v_fmac_f32_e32 v1, -0.5, v31
	v_add_nc_u32_e32 v31, 0x400, v105
	v_fmamk_f32 v28, v32, 0xbf5db3d7, v0
	v_fmac_f32_e32 v0, 0x3f5db3d7, v32
	v_add_nc_u32_e32 v32, 0xc00, v105
	v_add_f32_e32 v23, v25, v23
	v_fmamk_f32 v25, v26, 0x3f5db3d7, v19
	v_fmac_f32_e32 v19, 0xbf5db3d7, v26
	v_add_f32_e32 v26, v30, v37
	v_sub_f32_e32 v30, v40, v37
	ds_write2_b64 v105, v[4:5], v[8:9] offset1:51
	ds_write2_b64 v31, v[6:7], v[10:11] offset0:127 offset1:178
	v_add_nc_u32_e32 v4, 0x7f8, v108
	ds_write2_b64 v32, v[2:3], v[14:15] offset0:126 offset1:177
	v_add_nc_u32_e32 v2, 0x7f8, v107
	v_add_f32_e32 v27, v27, v29
	v_fmamk_f32 v29, v30, 0x3f5db3d7, v1
	v_fmac_f32_e32 v1, 0xbf5db3d7, v30
	v_add_nc_u32_e32 v3, 0x7f8, v106
	ds_write_b64 v105, v[16:17] offset:816
	ds_write2_b64 v4, v[20:21], v[12:13] offset1:255
	ds_write_b64 v105, v[22:23] offset:1224
	ds_write2_b64 v2, v[24:25], v[18:19] offset1:255
	;; [unrolled: 2-line block ×3, first 2 shown]
	s_waitcnt lgkmcnt(0)
	s_barrier
	buffer_gl0_inv
	s_and_b32 exec_lo, exec_lo, vcc_lo
	s_cbranch_execz .LBB0_15
; %bb.14:
	global_load_dwordx2 v[0:1], v93, s[12:13]
	ds_read_b64 v[2:3], v105
	s_mov_b32 s0, 0x156ac015
	s_mov_b32 s1, 0x3f556ac0
	v_mad_u64_u32 v[6:7], null, s4, v95, 0
	s_mul_i32 s2, s5, 0x168
	s_mul_i32 s3, s4, 0x168
	s_waitcnt vmcnt(0) lgkmcnt(0)
	v_mul_f32_e32 v4, v3, v1
	v_mul_f32_e32 v1, v2, v1
	v_fmac_f32_e32 v4, v2, v0
	v_fma_f32 v2, v0, v3, -v1
	v_cvt_f64_f32_e32 v[0:1], v4
	v_cvt_f64_f32_e32 v[2:3], v2
	v_mad_u64_u32 v[4:5], null, s6, v88, 0
	v_mad_u64_u32 v[8:9], null, s7, v88, v[5:6]
	;; [unrolled: 1-line block ×3, first 2 shown]
	v_mov_b32_e32 v5, v8
	v_lshl_add_u32 v10, v94, 3, v104
	v_mul_f64 v[0:1], v[0:1], s[0:1]
	v_mul_f64 v[2:3], v[2:3], s[0:1]
	s_mul_hi_u32 s5, s4, 0x168
	v_add_co_u32 v11, s4, s12, v93
	v_mov_b32_e32 v7, v9
	s_add_i32 s2, s5, s2
	v_add_co_ci_u32_e64 v12, null, s13, 0, s4
	v_add_nc_u32_e32 v13, 0x800, v10
	v_cvt_f32_f64_e32 v0, v[0:1]
	v_cvt_f32_f64_e32 v1, v[2:3]
	v_lshlrev_b64 v[2:3], 3, v[4:5]
	v_lshlrev_b64 v[4:5], 3, v[6:7]
	v_add_co_u32 v2, vcc_lo, s14, v2
	v_add_co_ci_u32_e32 v3, vcc_lo, s15, v3, vcc_lo
	v_add_co_u32 v4, vcc_lo, v2, v4
	v_add_co_ci_u32_e32 v5, vcc_lo, v3, v5, vcc_lo
	global_store_dwordx2 v[4:5], v[0:1], off
	global_load_dwordx2 v[6:7], v93, s[12:13] offset:360
	ds_read2_b64 v[0:3], v10 offset0:45 offset1:90
	v_add_co_u32 v4, vcc_lo, v4, s3
	v_add_co_ci_u32_e32 v5, vcc_lo, s2, v5, vcc_lo
	s_waitcnt vmcnt(0) lgkmcnt(0)
	v_mul_f32_e32 v8, v1, v7
	v_mul_f32_e32 v7, v0, v7
	v_fmac_f32_e32 v8, v0, v6
	v_fma_f32 v6, v6, v1, -v7
	v_cvt_f64_f32_e32 v[0:1], v8
	v_cvt_f64_f32_e32 v[6:7], v6
	v_mul_f64 v[0:1], v[0:1], s[0:1]
	v_mul_f64 v[6:7], v[6:7], s[0:1]
	v_cvt_f32_f64_e32 v0, v[0:1]
	v_cvt_f32_f64_e32 v1, v[6:7]
	global_store_dwordx2 v[4:5], v[0:1], off
	global_load_dwordx2 v[0:1], v93, s[12:13] offset:720
	v_add_co_u32 v4, vcc_lo, v4, s3
	v_add_co_ci_u32_e32 v5, vcc_lo, s2, v5, vcc_lo
	s_waitcnt vmcnt(0)
	v_mul_f32_e32 v6, v3, v1
	v_mul_f32_e32 v1, v2, v1
	v_fmac_f32_e32 v6, v2, v0
	v_fma_f32 v2, v0, v3, -v1
	v_cvt_f64_f32_e32 v[0:1], v6
	v_cvt_f64_f32_e32 v[2:3], v2
	v_mul_f64 v[0:1], v[0:1], s[0:1]
	v_mul_f64 v[2:3], v[2:3], s[0:1]
	v_cvt_f32_f64_e32 v0, v[0:1]
	v_cvt_f32_f64_e32 v1, v[2:3]
	global_store_dwordx2 v[4:5], v[0:1], off
	global_load_dwordx2 v[6:7], v93, s[12:13] offset:1080
	ds_read2_b64 v[0:3], v10 offset0:135 offset1:180
	v_add_co_u32 v4, vcc_lo, v4, s3
	v_add_co_ci_u32_e32 v5, vcc_lo, s2, v5, vcc_lo
	s_waitcnt vmcnt(0) lgkmcnt(0)
	v_mul_f32_e32 v8, v1, v7
	v_mul_f32_e32 v7, v0, v7
	v_fmac_f32_e32 v8, v0, v6
	v_fma_f32 v6, v6, v1, -v7
	v_cvt_f64_f32_e32 v[0:1], v8
	v_cvt_f64_f32_e32 v[6:7], v6
	v_mul_f64 v[0:1], v[0:1], s[0:1]
	v_mul_f64 v[6:7], v[6:7], s[0:1]
	v_cvt_f32_f64_e32 v0, v[0:1]
	v_cvt_f32_f64_e32 v1, v[6:7]
	global_store_dwordx2 v[4:5], v[0:1], off
	global_load_dwordx2 v[0:1], v93, s[12:13] offset:1440
	v_add_co_u32 v4, vcc_lo, v4, s3
	v_add_co_ci_u32_e32 v5, vcc_lo, s2, v5, vcc_lo
	s_waitcnt vmcnt(0)
	v_mul_f32_e32 v6, v3, v1
	v_mul_f32_e32 v1, v2, v1
	v_fmac_f32_e32 v6, v2, v0
	v_fma_f32 v2, v0, v3, -v1
	v_cvt_f64_f32_e32 v[0:1], v6
	v_cvt_f64_f32_e32 v[2:3], v2
	v_mul_f64 v[0:1], v[0:1], s[0:1]
	v_mul_f64 v[2:3], v[2:3], s[0:1]
	v_cvt_f32_f64_e32 v0, v[0:1]
	v_cvt_f32_f64_e32 v1, v[2:3]
	global_store_dwordx2 v[4:5], v[0:1], off
	global_load_dwordx2 v[6:7], v93, s[12:13] offset:1800
	v_add_nc_u32_e32 v0, 0x400, v10
	v_add_co_u32 v4, vcc_lo, v4, s3
	v_add_co_ci_u32_e32 v5, vcc_lo, s2, v5, vcc_lo
	ds_read2_b64 v[0:3], v0 offset0:97 offset1:142
	s_waitcnt vmcnt(0) lgkmcnt(0)
	v_mul_f32_e32 v8, v1, v7
	v_mul_f32_e32 v7, v0, v7
	v_fmac_f32_e32 v8, v0, v6
	v_fma_f32 v6, v6, v1, -v7
	v_cvt_f64_f32_e32 v[0:1], v8
	v_cvt_f64_f32_e32 v[6:7], v6
	v_mul_f64 v[0:1], v[0:1], s[0:1]
	v_mul_f64 v[6:7], v[6:7], s[0:1]
	v_cvt_f32_f64_e32 v0, v[0:1]
	v_cvt_f32_f64_e32 v1, v[6:7]
	v_add_co_u32 v6, vcc_lo, 0x800, v11
	v_add_co_ci_u32_e32 v7, vcc_lo, 0, v12, vcc_lo
	global_store_dwordx2 v[4:5], v[0:1], off
	global_load_dwordx2 v[0:1], v[6:7], off offset:112
	v_add_co_u32 v4, vcc_lo, v4, s3
	v_add_co_ci_u32_e32 v5, vcc_lo, s2, v5, vcc_lo
	s_waitcnt vmcnt(0)
	v_mul_f32_e32 v8, v3, v1
	v_mul_f32_e32 v1, v2, v1
	v_fmac_f32_e32 v8, v2, v0
	v_fma_f32 v2, v0, v3, -v1
	v_cvt_f64_f32_e32 v[0:1], v8
	v_cvt_f64_f32_e32 v[2:3], v2
	v_mul_f64 v[0:1], v[0:1], s[0:1]
	v_mul_f64 v[2:3], v[2:3], s[0:1]
	v_cvt_f32_f64_e32 v0, v[0:1]
	v_cvt_f32_f64_e32 v1, v[2:3]
	global_store_dwordx2 v[4:5], v[0:1], off
	global_load_dwordx2 v[8:9], v[6:7], off offset:472
	ds_read2_b64 v[0:3], v13 offset0:59 offset1:104
	v_add_co_u32 v4, vcc_lo, v4, s3
	v_add_co_ci_u32_e32 v5, vcc_lo, s2, v5, vcc_lo
	s_waitcnt vmcnt(0) lgkmcnt(0)
	v_mul_f32_e32 v14, v1, v9
	v_mul_f32_e32 v9, v0, v9
	v_fmac_f32_e32 v14, v0, v8
	v_fma_f32 v8, v8, v1, -v9
	v_cvt_f64_f32_e32 v[0:1], v14
	v_cvt_f64_f32_e32 v[8:9], v8
	v_mul_f64 v[0:1], v[0:1], s[0:1]
	v_mul_f64 v[8:9], v[8:9], s[0:1]
	v_cvt_f32_f64_e32 v0, v[0:1]
	v_cvt_f32_f64_e32 v1, v[8:9]
	global_store_dwordx2 v[4:5], v[0:1], off
	global_load_dwordx2 v[0:1], v[6:7], off offset:832
	v_add_co_u32 v4, vcc_lo, v4, s3
	v_add_co_ci_u32_e32 v5, vcc_lo, s2, v5, vcc_lo
	s_waitcnt vmcnt(0)
	v_mul_f32_e32 v8, v3, v1
	v_mul_f32_e32 v1, v2, v1
	v_fmac_f32_e32 v8, v2, v0
	v_fma_f32 v2, v0, v3, -v1
	v_cvt_f64_f32_e32 v[0:1], v8
	v_cvt_f64_f32_e32 v[2:3], v2
	v_mul_f64 v[0:1], v[0:1], s[0:1]
	v_mul_f64 v[2:3], v[2:3], s[0:1]
	v_cvt_f32_f64_e32 v0, v[0:1]
	v_cvt_f32_f64_e32 v1, v[2:3]
	global_store_dwordx2 v[4:5], v[0:1], off
	global_load_dwordx2 v[8:9], v[6:7], off offset:1192
	ds_read2_b64 v[0:3], v13 offset0:149 offset1:194
	v_add_co_u32 v4, vcc_lo, v4, s3
	v_add_co_ci_u32_e32 v5, vcc_lo, s2, v5, vcc_lo
	s_waitcnt vmcnt(0) lgkmcnt(0)
	v_mul_f32_e32 v13, v1, v9
	v_mul_f32_e32 v9, v0, v9
	v_fmac_f32_e32 v13, v0, v8
	v_fma_f32 v8, v8, v1, -v9
	v_cvt_f64_f32_e32 v[0:1], v13
	v_cvt_f64_f32_e32 v[8:9], v8
	v_mul_f64 v[0:1], v[0:1], s[0:1]
	v_mul_f64 v[8:9], v[8:9], s[0:1]
	v_cvt_f32_f64_e32 v0, v[0:1]
	v_cvt_f32_f64_e32 v1, v[8:9]
	global_store_dwordx2 v[4:5], v[0:1], off
	global_load_dwordx2 v[0:1], v[6:7], off offset:1552
	v_add_co_u32 v4, vcc_lo, v4, s3
	v_add_co_ci_u32_e32 v5, vcc_lo, s2, v5, vcc_lo
	s_waitcnt vmcnt(0)
	v_mul_f32_e32 v8, v3, v1
	v_mul_f32_e32 v1, v2, v1
	v_fmac_f32_e32 v8, v2, v0
	v_fma_f32 v2, v0, v3, -v1
	v_cvt_f64_f32_e32 v[0:1], v8
	v_cvt_f64_f32_e32 v[2:3], v2
	v_mul_f64 v[0:1], v[0:1], s[0:1]
	v_mul_f64 v[2:3], v[2:3], s[0:1]
	v_cvt_f32_f64_e32 v0, v[0:1]
	v_cvt_f32_f64_e32 v1, v[2:3]
	global_store_dwordx2 v[4:5], v[0:1], off
	global_load_dwordx2 v[6:7], v[6:7], off offset:1912
	v_add_nc_u32_e32 v0, 0xc00, v10
	v_add_co_u32 v4, vcc_lo, v4, s3
	v_add_co_ci_u32_e32 v5, vcc_lo, s2, v5, vcc_lo
	ds_read2_b64 v[0:3], v0 offset0:111 offset1:156
	v_add_nc_u32_e32 v10, 0x1000, v10
	s_waitcnt vmcnt(0) lgkmcnt(0)
	v_mul_f32_e32 v8, v1, v7
	v_mul_f32_e32 v7, v0, v7
	v_fmac_f32_e32 v8, v0, v6
	v_fma_f32 v6, v6, v1, -v7
	v_cvt_f64_f32_e32 v[0:1], v8
	v_cvt_f64_f32_e32 v[6:7], v6
	v_mul_f64 v[0:1], v[0:1], s[0:1]
	v_mul_f64 v[6:7], v[6:7], s[0:1]
	v_cvt_f32_f64_e32 v0, v[0:1]
	v_cvt_f32_f64_e32 v1, v[6:7]
	v_add_co_u32 v6, vcc_lo, 0x1000, v11
	v_add_co_ci_u32_e32 v7, vcc_lo, 0, v12, vcc_lo
	global_store_dwordx2 v[4:5], v[0:1], off
	global_load_dwordx2 v[0:1], v[6:7], off offset:224
	v_add_co_u32 v4, vcc_lo, v4, s3
	v_add_co_ci_u32_e32 v5, vcc_lo, s2, v5, vcc_lo
	s_waitcnt vmcnt(0)
	v_mul_f32_e32 v8, v3, v1
	v_mul_f32_e32 v1, v2, v1
	v_fmac_f32_e32 v8, v2, v0
	v_fma_f32 v2, v0, v3, -v1
	v_cvt_f64_f32_e32 v[0:1], v8
	v_cvt_f64_f32_e32 v[2:3], v2
	v_mul_f64 v[0:1], v[0:1], s[0:1]
	v_mul_f64 v[2:3], v[2:3], s[0:1]
	v_cvt_f32_f64_e32 v0, v[0:1]
	v_cvt_f32_f64_e32 v1, v[2:3]
	global_store_dwordx2 v[4:5], v[0:1], off
	global_load_dwordx2 v[8:9], v[6:7], off offset:584
	ds_read2_b64 v[0:3], v10 offset0:73 offset1:118
	v_add_co_u32 v4, vcc_lo, v4, s3
	v_add_co_ci_u32_e32 v5, vcc_lo, s2, v5, vcc_lo
	s_waitcnt vmcnt(0) lgkmcnt(0)
	v_mul_f32_e32 v11, v1, v9
	v_mul_f32_e32 v9, v0, v9
	v_fmac_f32_e32 v11, v0, v8
	v_fma_f32 v8, v8, v1, -v9
	v_cvt_f64_f32_e32 v[0:1], v11
	v_cvt_f64_f32_e32 v[8:9], v8
	v_mul_f64 v[0:1], v[0:1], s[0:1]
	v_mul_f64 v[8:9], v[8:9], s[0:1]
	v_cvt_f32_f64_e32 v0, v[0:1]
	v_cvt_f32_f64_e32 v1, v[8:9]
	global_store_dwordx2 v[4:5], v[0:1], off
	global_load_dwordx2 v[0:1], v[6:7], off offset:944
	v_add_co_u32 v4, vcc_lo, v4, s3
	v_add_co_ci_u32_e32 v5, vcc_lo, s2, v5, vcc_lo
	s_waitcnt vmcnt(0)
	v_mul_f32_e32 v8, v3, v1
	v_mul_f32_e32 v1, v2, v1
	v_fmac_f32_e32 v8, v2, v0
	v_fma_f32 v2, v0, v3, -v1
	v_cvt_f64_f32_e32 v[0:1], v8
	v_cvt_f64_f32_e32 v[2:3], v2
	v_mul_f64 v[0:1], v[0:1], s[0:1]
	v_mul_f64 v[2:3], v[2:3], s[0:1]
	v_cvt_f32_f64_e32 v0, v[0:1]
	v_cvt_f32_f64_e32 v1, v[2:3]
	global_store_dwordx2 v[4:5], v[0:1], off
	global_load_dwordx2 v[8:9], v[6:7], off offset:1304
	ds_read2_b64 v[0:3], v10 offset0:163 offset1:208
	v_add_co_u32 v4, vcc_lo, v4, s3
	v_add_co_ci_u32_e32 v5, vcc_lo, s2, v5, vcc_lo
	s_waitcnt vmcnt(0) lgkmcnt(0)
	v_mul_f32_e32 v10, v1, v9
	v_mul_f32_e32 v9, v0, v9
	v_fmac_f32_e32 v10, v0, v8
	v_fma_f32 v8, v8, v1, -v9
	v_cvt_f64_f32_e32 v[0:1], v10
	v_cvt_f64_f32_e32 v[8:9], v8
	v_mul_f64 v[0:1], v[0:1], s[0:1]
	v_mul_f64 v[8:9], v[8:9], s[0:1]
	v_cvt_f32_f64_e32 v0, v[0:1]
	v_cvt_f32_f64_e32 v1, v[8:9]
	global_store_dwordx2 v[4:5], v[0:1], off
	global_load_dwordx2 v[0:1], v[6:7], off offset:1664
	s_waitcnt vmcnt(0)
	v_mul_f32_e32 v6, v3, v1
	v_mul_f32_e32 v1, v2, v1
	v_fmac_f32_e32 v6, v2, v0
	v_fma_f32 v2, v0, v3, -v1
	v_cvt_f64_f32_e32 v[0:1], v6
	v_cvt_f64_f32_e32 v[2:3], v2
	v_mul_f64 v[0:1], v[0:1], s[0:1]
	v_mul_f64 v[2:3], v[2:3], s[0:1]
	v_cvt_f32_f64_e32 v0, v[0:1]
	v_cvt_f32_f64_e32 v1, v[2:3]
	v_add_co_u32 v2, vcc_lo, v4, s3
	v_add_co_ci_u32_e32 v3, vcc_lo, s2, v5, vcc_lo
	global_store_dwordx2 v[2:3], v[0:1], off
.LBB0_15:
	s_endpgm
	.section	.rodata,"a",@progbits
	.p2align	6, 0x0
	.amdhsa_kernel bluestein_single_back_len765_dim1_sp_op_CI_CI
		.amdhsa_group_segment_fixed_size 30600
		.amdhsa_private_segment_fixed_size 0
		.amdhsa_kernarg_size 104
		.amdhsa_user_sgpr_count 6
		.amdhsa_user_sgpr_private_segment_buffer 1
		.amdhsa_user_sgpr_dispatch_ptr 0
		.amdhsa_user_sgpr_queue_ptr 0
		.amdhsa_user_sgpr_kernarg_segment_ptr 1
		.amdhsa_user_sgpr_dispatch_id 0
		.amdhsa_user_sgpr_flat_scratch_init 0
		.amdhsa_user_sgpr_private_segment_size 0
		.amdhsa_wavefront_size32 1
		.amdhsa_uses_dynamic_stack 0
		.amdhsa_system_sgpr_private_segment_wavefront_offset 0
		.amdhsa_system_sgpr_workgroup_id_x 1
		.amdhsa_system_sgpr_workgroup_id_y 0
		.amdhsa_system_sgpr_workgroup_id_z 0
		.amdhsa_system_sgpr_workgroup_info 0
		.amdhsa_system_vgpr_workitem_id 0
		.amdhsa_next_free_vgpr 239
		.amdhsa_next_free_sgpr 16
		.amdhsa_reserve_vcc 1
		.amdhsa_reserve_flat_scratch 0
		.amdhsa_float_round_mode_32 0
		.amdhsa_float_round_mode_16_64 0
		.amdhsa_float_denorm_mode_32 3
		.amdhsa_float_denorm_mode_16_64 3
		.amdhsa_dx10_clamp 1
		.amdhsa_ieee_mode 1
		.amdhsa_fp16_overflow 0
		.amdhsa_workgroup_processor_mode 1
		.amdhsa_memory_ordered 1
		.amdhsa_forward_progress 0
		.amdhsa_shared_vgpr_count 0
		.amdhsa_exception_fp_ieee_invalid_op 0
		.amdhsa_exception_fp_denorm_src 0
		.amdhsa_exception_fp_ieee_div_zero 0
		.amdhsa_exception_fp_ieee_overflow 0
		.amdhsa_exception_fp_ieee_underflow 0
		.amdhsa_exception_fp_ieee_inexact 0
		.amdhsa_exception_int_div_zero 0
	.end_amdhsa_kernel
	.text
.Lfunc_end0:
	.size	bluestein_single_back_len765_dim1_sp_op_CI_CI, .Lfunc_end0-bluestein_single_back_len765_dim1_sp_op_CI_CI
                                        ; -- End function
	.section	.AMDGPU.csdata,"",@progbits
; Kernel info:
; codeLenInByte = 20800
; NumSgprs: 18
; NumVgprs: 239
; ScratchSize: 0
; MemoryBound: 0
; FloatMode: 240
; IeeeMode: 1
; LDSByteSize: 30600 bytes/workgroup (compile time only)
; SGPRBlocks: 2
; VGPRBlocks: 29
; NumSGPRsForWavesPerEU: 18
; NumVGPRsForWavesPerEU: 239
; Occupancy: 4
; WaveLimiterHint : 1
; COMPUTE_PGM_RSRC2:SCRATCH_EN: 0
; COMPUTE_PGM_RSRC2:USER_SGPR: 6
; COMPUTE_PGM_RSRC2:TRAP_HANDLER: 0
; COMPUTE_PGM_RSRC2:TGID_X_EN: 1
; COMPUTE_PGM_RSRC2:TGID_Y_EN: 0
; COMPUTE_PGM_RSRC2:TGID_Z_EN: 0
; COMPUTE_PGM_RSRC2:TIDIG_COMP_CNT: 0
	.text
	.p2alignl 6, 3214868480
	.fill 48, 4, 3214868480
	.type	__hip_cuid_fa1f6b6cdeaeaea1,@object ; @__hip_cuid_fa1f6b6cdeaeaea1
	.section	.bss,"aw",@nobits
	.globl	__hip_cuid_fa1f6b6cdeaeaea1
__hip_cuid_fa1f6b6cdeaeaea1:
	.byte	0                               ; 0x0
	.size	__hip_cuid_fa1f6b6cdeaeaea1, 1

	.ident	"AMD clang version 19.0.0git (https://github.com/RadeonOpenCompute/llvm-project roc-6.4.0 25133 c7fe45cf4b819c5991fe208aaa96edf142730f1d)"
	.section	".note.GNU-stack","",@progbits
	.addrsig
	.addrsig_sym __hip_cuid_fa1f6b6cdeaeaea1
	.amdgpu_metadata
---
amdhsa.kernels:
  - .args:
      - .actual_access:  read_only
        .address_space:  global
        .offset:         0
        .size:           8
        .value_kind:     global_buffer
      - .actual_access:  read_only
        .address_space:  global
        .offset:         8
        .size:           8
        .value_kind:     global_buffer
      - .actual_access:  read_only
        .address_space:  global
        .offset:         16
        .size:           8
        .value_kind:     global_buffer
      - .actual_access:  read_only
        .address_space:  global
        .offset:         24
        .size:           8
        .value_kind:     global_buffer
      - .actual_access:  read_only
        .address_space:  global
        .offset:         32
        .size:           8
        .value_kind:     global_buffer
      - .offset:         40
        .size:           8
        .value_kind:     by_value
      - .address_space:  global
        .offset:         48
        .size:           8
        .value_kind:     global_buffer
      - .address_space:  global
        .offset:         56
        .size:           8
        .value_kind:     global_buffer
      - .address_space:  global
        .offset:         64
        .size:           8
        .value_kind:     global_buffer
      - .address_space:  global
        .offset:         72
        .size:           8
        .value_kind:     global_buffer
      - .offset:         80
        .size:           4
        .value_kind:     by_value
      - .address_space:  global
        .offset:         88
        .size:           8
        .value_kind:     global_buffer
      - .address_space:  global
        .offset:         96
        .size:           8
        .value_kind:     global_buffer
    .group_segment_fixed_size: 30600
    .kernarg_segment_align: 8
    .kernarg_segment_size: 104
    .language:       OpenCL C
    .language_version:
      - 2
      - 0
    .max_flat_workgroup_size: 255
    .name:           bluestein_single_back_len765_dim1_sp_op_CI_CI
    .private_segment_fixed_size: 0
    .sgpr_count:     18
    .sgpr_spill_count: 0
    .symbol:         bluestein_single_back_len765_dim1_sp_op_CI_CI.kd
    .uniform_work_group_size: 1
    .uses_dynamic_stack: false
    .vgpr_count:     239
    .vgpr_spill_count: 0
    .wavefront_size: 32
    .workgroup_processor_mode: 1
amdhsa.target:   amdgcn-amd-amdhsa--gfx1030
amdhsa.version:
  - 1
  - 2
...

	.end_amdgpu_metadata
